;; amdgpu-corpus repo=ROCm/rocFFT kind=compiled arch=gfx1030 opt=O3
	.text
	.amdgcn_target "amdgcn-amd-amdhsa--gfx1030"
	.amdhsa_code_object_version 6
	.protected	fft_rtc_fwd_len1352_factors_2_13_13_4_wgs_52_tpt_52_halfLds_dp_ip_CI_unitstride_sbrr_R2C_dirReg ; -- Begin function fft_rtc_fwd_len1352_factors_2_13_13_4_wgs_52_tpt_52_halfLds_dp_ip_CI_unitstride_sbrr_R2C_dirReg
	.globl	fft_rtc_fwd_len1352_factors_2_13_13_4_wgs_52_tpt_52_halfLds_dp_ip_CI_unitstride_sbrr_R2C_dirReg
	.p2align	8
	.type	fft_rtc_fwd_len1352_factors_2_13_13_4_wgs_52_tpt_52_halfLds_dp_ip_CI_unitstride_sbrr_R2C_dirReg,@function
fft_rtc_fwd_len1352_factors_2_13_13_4_wgs_52_tpt_52_halfLds_dp_ip_CI_unitstride_sbrr_R2C_dirReg: ; @fft_rtc_fwd_len1352_factors_2_13_13_4_wgs_52_tpt_52_halfLds_dp_ip_CI_unitstride_sbrr_R2C_dirReg
; %bb.0:
	s_mov_b64 s[46:47], s[2:3]
	s_mov_b64 s[44:45], s[0:1]
	s_clause 0x2
	s_load_dwordx4 s[8:11], s[4:5], 0x0
	s_load_dwordx2 s[2:3], s[4:5], 0x50
	s_load_dwordx2 s[12:13], s[4:5], 0x18
	v_mul_u32_u24_e32 v1, 0x4ed, v0
	v_mov_b32_e32 v3, 0
	s_add_u32 s44, s44, s7
	s_addc_u32 s45, s45, 0
	v_add_nc_u32_sdwa v5, s6, v1 dst_sel:DWORD dst_unused:UNUSED_PAD src0_sel:DWORD src1_sel:WORD_1
	v_mov_b32_e32 v1, 0
	v_mov_b32_e32 v6, v3
	;; [unrolled: 1-line block ×3, first 2 shown]
	s_waitcnt lgkmcnt(0)
	v_cmp_lt_u64_e64 s0, s[10:11], 2
	s_and_b32 vcc_lo, exec_lo, s0
	s_cbranch_vccnz .LBB0_8
; %bb.1:
	s_load_dwordx2 s[0:1], s[4:5], 0x10
	v_mov_b32_e32 v1, 0
	s_add_u32 s6, s12, 8
	v_mov_b32_e32 v2, 0
	s_addc_u32 s7, s13, 0
	s_mov_b64 s[16:17], 1
	s_waitcnt lgkmcnt(0)
	s_add_u32 s14, s0, 8
	s_addc_u32 s15, s1, 0
.LBB0_2:                                ; =>This Inner Loop Header: Depth=1
	s_load_dwordx2 s[18:19], s[14:15], 0x0
                                        ; implicit-def: $vgpr7_vgpr8
	s_mov_b32 s0, exec_lo
	s_waitcnt lgkmcnt(0)
	v_or_b32_e32 v4, s19, v6
	v_cmpx_ne_u64_e32 0, v[3:4]
	s_xor_b32 s1, exec_lo, s0
	s_cbranch_execz .LBB0_4
; %bb.3:                                ;   in Loop: Header=BB0_2 Depth=1
	v_cvt_f32_u32_e32 v4, s18
	v_cvt_f32_u32_e32 v7, s19
	s_sub_u32 s0, 0, s18
	s_subb_u32 s20, 0, s19
	v_fmac_f32_e32 v4, 0x4f800000, v7
	v_rcp_f32_e32 v4, v4
	v_mul_f32_e32 v4, 0x5f7ffffc, v4
	v_mul_f32_e32 v7, 0x2f800000, v4
	v_trunc_f32_e32 v7, v7
	v_fmac_f32_e32 v4, 0xcf800000, v7
	v_cvt_u32_f32_e32 v7, v7
	v_cvt_u32_f32_e32 v4, v4
	v_mul_lo_u32 v8, s0, v7
	v_mul_hi_u32 v9, s0, v4
	v_mul_lo_u32 v10, s20, v4
	v_add_nc_u32_e32 v8, v9, v8
	v_mul_lo_u32 v9, s0, v4
	v_add_nc_u32_e32 v8, v8, v10
	v_mul_hi_u32 v10, v4, v9
	v_mul_lo_u32 v11, v4, v8
	v_mul_hi_u32 v12, v4, v8
	v_mul_hi_u32 v13, v7, v9
	v_mul_lo_u32 v9, v7, v9
	v_mul_hi_u32 v14, v7, v8
	v_mul_lo_u32 v8, v7, v8
	v_add_co_u32 v10, vcc_lo, v10, v11
	v_add_co_ci_u32_e32 v11, vcc_lo, 0, v12, vcc_lo
	v_add_co_u32 v9, vcc_lo, v10, v9
	v_add_co_ci_u32_e32 v9, vcc_lo, v11, v13, vcc_lo
	v_add_co_ci_u32_e32 v10, vcc_lo, 0, v14, vcc_lo
	v_add_co_u32 v8, vcc_lo, v9, v8
	v_add_co_ci_u32_e32 v9, vcc_lo, 0, v10, vcc_lo
	v_add_co_u32 v4, vcc_lo, v4, v8
	v_add_co_ci_u32_e32 v7, vcc_lo, v7, v9, vcc_lo
	v_mul_hi_u32 v8, s0, v4
	v_mul_lo_u32 v10, s20, v4
	v_mul_lo_u32 v9, s0, v7
	v_add_nc_u32_e32 v8, v8, v9
	v_mul_lo_u32 v9, s0, v4
	v_add_nc_u32_e32 v8, v8, v10
	v_mul_hi_u32 v10, v4, v9
	v_mul_lo_u32 v11, v4, v8
	v_mul_hi_u32 v12, v4, v8
	v_mul_hi_u32 v13, v7, v9
	v_mul_lo_u32 v9, v7, v9
	v_mul_hi_u32 v14, v7, v8
	v_mul_lo_u32 v8, v7, v8
	v_add_co_u32 v10, vcc_lo, v10, v11
	v_add_co_ci_u32_e32 v11, vcc_lo, 0, v12, vcc_lo
	v_add_co_u32 v9, vcc_lo, v10, v9
	v_add_co_ci_u32_e32 v9, vcc_lo, v11, v13, vcc_lo
	v_add_co_ci_u32_e32 v10, vcc_lo, 0, v14, vcc_lo
	v_add_co_u32 v8, vcc_lo, v9, v8
	v_add_co_ci_u32_e32 v9, vcc_lo, 0, v10, vcc_lo
	v_add_co_u32 v4, vcc_lo, v4, v8
	v_add_co_ci_u32_e32 v11, vcc_lo, v7, v9, vcc_lo
	v_mul_hi_u32 v13, v5, v4
	v_mad_u64_u32 v[9:10], null, v6, v4, 0
	v_mad_u64_u32 v[7:8], null, v5, v11, 0
	;; [unrolled: 1-line block ×3, first 2 shown]
	v_add_co_u32 v4, vcc_lo, v13, v7
	v_add_co_ci_u32_e32 v7, vcc_lo, 0, v8, vcc_lo
	v_add_co_u32 v4, vcc_lo, v4, v9
	v_add_co_ci_u32_e32 v4, vcc_lo, v7, v10, vcc_lo
	v_add_co_ci_u32_e32 v7, vcc_lo, 0, v12, vcc_lo
	v_add_co_u32 v4, vcc_lo, v4, v11
	v_add_co_ci_u32_e32 v9, vcc_lo, 0, v7, vcc_lo
	v_mul_lo_u32 v10, s19, v4
	v_mad_u64_u32 v[7:8], null, s18, v4, 0
	v_mul_lo_u32 v11, s18, v9
	v_sub_co_u32 v7, vcc_lo, v5, v7
	v_add3_u32 v8, v8, v11, v10
	v_sub_nc_u32_e32 v10, v6, v8
	v_subrev_co_ci_u32_e64 v10, s0, s19, v10, vcc_lo
	v_add_co_u32 v11, s0, v4, 2
	v_add_co_ci_u32_e64 v12, s0, 0, v9, s0
	v_sub_co_u32 v13, s0, v7, s18
	v_sub_co_ci_u32_e32 v8, vcc_lo, v6, v8, vcc_lo
	v_subrev_co_ci_u32_e64 v10, s0, 0, v10, s0
	v_cmp_le_u32_e32 vcc_lo, s18, v13
	v_cmp_eq_u32_e64 s0, s19, v8
	v_cndmask_b32_e64 v13, 0, -1, vcc_lo
	v_cmp_le_u32_e32 vcc_lo, s19, v10
	v_cndmask_b32_e64 v14, 0, -1, vcc_lo
	v_cmp_le_u32_e32 vcc_lo, s18, v7
	;; [unrolled: 2-line block ×3, first 2 shown]
	v_cndmask_b32_e64 v15, 0, -1, vcc_lo
	v_cmp_eq_u32_e32 vcc_lo, s19, v10
	v_cndmask_b32_e64 v7, v15, v7, s0
	v_cndmask_b32_e32 v10, v14, v13, vcc_lo
	v_add_co_u32 v13, vcc_lo, v4, 1
	v_add_co_ci_u32_e32 v14, vcc_lo, 0, v9, vcc_lo
	v_cmp_ne_u32_e32 vcc_lo, 0, v10
	v_cndmask_b32_e32 v8, v14, v12, vcc_lo
	v_cndmask_b32_e32 v10, v13, v11, vcc_lo
	v_cmp_ne_u32_e32 vcc_lo, 0, v7
	v_cndmask_b32_e32 v8, v9, v8, vcc_lo
	v_cndmask_b32_e32 v7, v4, v10, vcc_lo
.LBB0_4:                                ;   in Loop: Header=BB0_2 Depth=1
	s_andn2_saveexec_b32 s0, s1
	s_cbranch_execz .LBB0_6
; %bb.5:                                ;   in Loop: Header=BB0_2 Depth=1
	v_cvt_f32_u32_e32 v4, s18
	s_sub_i32 s1, 0, s18
	v_rcp_iflag_f32_e32 v4, v4
	v_mul_f32_e32 v4, 0x4f7ffffe, v4
	v_cvt_u32_f32_e32 v4, v4
	v_mul_lo_u32 v7, s1, v4
	v_mul_hi_u32 v7, v4, v7
	v_add_nc_u32_e32 v4, v4, v7
	v_mul_hi_u32 v4, v5, v4
	v_mul_lo_u32 v7, v4, s18
	v_add_nc_u32_e32 v8, 1, v4
	v_sub_nc_u32_e32 v7, v5, v7
	v_subrev_nc_u32_e32 v9, s18, v7
	v_cmp_le_u32_e32 vcc_lo, s18, v7
	v_cndmask_b32_e32 v7, v7, v9, vcc_lo
	v_cndmask_b32_e32 v4, v4, v8, vcc_lo
	v_cmp_le_u32_e32 vcc_lo, s18, v7
	v_add_nc_u32_e32 v8, 1, v4
	v_cndmask_b32_e32 v7, v4, v8, vcc_lo
	v_mov_b32_e32 v8, v3
.LBB0_6:                                ;   in Loop: Header=BB0_2 Depth=1
	s_or_b32 exec_lo, exec_lo, s0
	s_load_dwordx2 s[0:1], s[6:7], 0x0
	v_mul_lo_u32 v4, v8, s18
	v_mul_lo_u32 v11, v7, s19
	v_mad_u64_u32 v[9:10], null, v7, s18, 0
	s_add_u32 s16, s16, 1
	s_addc_u32 s17, s17, 0
	s_add_u32 s6, s6, 8
	s_addc_u32 s7, s7, 0
	;; [unrolled: 2-line block ×3, first 2 shown]
	v_add3_u32 v4, v10, v11, v4
	v_sub_co_u32 v5, vcc_lo, v5, v9
	v_sub_co_ci_u32_e32 v4, vcc_lo, v6, v4, vcc_lo
	s_waitcnt lgkmcnt(0)
	v_mul_lo_u32 v6, s1, v5
	v_mul_lo_u32 v4, s0, v4
	v_mad_u64_u32 v[1:2], null, s0, v5, v[1:2]
	v_cmp_ge_u64_e64 s0, s[16:17], s[10:11]
	s_and_b32 vcc_lo, exec_lo, s0
	v_add3_u32 v2, v6, v2, v4
	s_cbranch_vccnz .LBB0_9
; %bb.7:                                ;   in Loop: Header=BB0_2 Depth=1
	v_mov_b32_e32 v5, v7
	v_mov_b32_e32 v6, v8
	s_branch .LBB0_2
.LBB0_8:
	v_mov_b32_e32 v8, v6
	v_mov_b32_e32 v7, v5
.LBB0_9:
	s_lshl_b64 s[0:1], s[10:11], 3
	v_mul_hi_u32 v3, 0x4ec4ec5, v0
	s_add_u32 s0, s12, s0
	s_addc_u32 s1, s13, s1
	s_load_dwordx2 s[4:5], s[4:5], 0x20
	s_load_dwordx2 s[0:1], s[0:1], 0x0
	v_mul_u32_u24_e32 v3, 52, v3
	v_sub_nc_u32_e32 v112, v0, v3
	v_add_nc_u32_e32 v114, 52, v112
	v_add_nc_u32_e32 v127, 0x68, v112
	v_add_nc_u32_e32 v126, 0x9c, v112
	v_add_nc_u32_e32 v125, 0xd0, v112
	v_add_nc_u32_e32 v124, 0x104, v112
	s_waitcnt lgkmcnt(0)
	v_cmp_gt_u64_e32 vcc_lo, s[4:5], v[7:8]
	v_mul_lo_u32 v3, s0, v8
	v_mul_lo_u32 v4, s1, v7
	v_mad_u64_u32 v[0:1], null, s0, v7, v[1:2]
	v_cmp_le_u64_e64 s0, s[4:5], v[7:8]
	v_add_nc_u32_e32 v123, 0x138, v112
	v_add_nc_u32_e32 v122, 0x1a0, v112
	;; [unrolled: 1-line block ×4, first 2 shown]
	v_add3_u32 v1, v4, v1, v3
	s_and_saveexec_b32 s1, s0
	s_xor_b32 s0, exec_lo, s1
; %bb.10:
	v_add_nc_u32_e32 v114, 52, v112
	v_add_nc_u32_e32 v127, 0x68, v112
	;; [unrolled: 1-line block ×9, first 2 shown]
; %bb.11:
	s_or_saveexec_b32 s1, s0
	v_lshlrev_b64 v[0:1], 4, v[0:1]
	v_lshl_add_u32 v198, v112, 4, 0
	buffer_store_dword v0, off, s[44:47], 0 offset:8 ; 4-byte Folded Spill
	buffer_store_dword v1, off, s[44:47], 0 offset:12 ; 4-byte Folded Spill
	v_or_b32_e32 v0, 0x340, v112
	buffer_store_dword v0, off, s[44:47], 0 ; 4-byte Folded Spill
	buffer_store_dword v1, off, s[44:47], 0 offset:4 ; 4-byte Folded Spill
	s_xor_b32 exec_lo, exec_lo, s1
	s_cbranch_execz .LBB0_13
; %bb.12:
	s_clause 0x1
	buffer_load_dword v2, off, s[44:47], 0 offset:8
	buffer_load_dword v3, off, s[44:47], 0 offset:12
	v_mov_b32_e32 v113, 0
	v_lshlrev_b64 v[0:1], 4, v[112:113]
	s_waitcnt vmcnt(1)
	v_add_co_u32 v54, s0, s2, v2
	s_waitcnt vmcnt(0)
	v_add_co_ci_u32_e64 v55, s0, s3, v3, s0
	v_add_co_u32 v48, s0, v54, v0
	v_add_co_ci_u32_e64 v49, s0, v55, v1, s0
	s_clause 0x1
	global_load_dwordx4 v[0:3], v[48:49], off
	global_load_dwordx4 v[4:7], v[48:49], off offset:832
	v_add_co_u32 v16, s0, 0x800, v48
	v_add_co_ci_u32_e64 v17, s0, 0, v49, s0
	v_add_co_u32 v28, s0, 0x1000, v48
	v_add_co_ci_u32_e64 v29, s0, 0, v49, s0
	s_clause 0x5
	global_load_dwordx4 v[8:11], v[48:49], off offset:1664
	global_load_dwordx4 v[12:15], v[16:17], off offset:448
	;; [unrolled: 1-line block ×6, first 2 shown]
	s_clause 0x1
	buffer_load_dword v52, off, s[44:47], 0
	buffer_load_dword v53, off, s[44:47], 0 offset:4
	v_add_co_u32 v36, s0, 0x1800, v48
	s_waitcnt vmcnt(0)
	v_mov_b32_e32 v53, v113
	v_add_co_ci_u32_e64 v37, s0, 0, v49, s0
	v_add_co_u32 v50, s0, 0x2000, v48
	v_add_co_ci_u32_e64 v51, s0, 0, v49, s0
	s_clause 0x3
	global_load_dwordx4 v[32:35], v[36:37], off offset:512
	global_load_dwordx4 v[36:39], v[36:37], off offset:1344
	;; [unrolled: 1-line block ×4, first 2 shown]
	v_mov_b32_e32 v56, v52
	v_lshlrev_b64 v[52:53], 4, v[52:53]
	buffer_store_dword v56, off, s[44:47], 0 ; 4-byte Folded Spill
	buffer_store_dword v57, off, s[44:47], 0 offset:4 ; 4-byte Folded Spill
	v_add_co_u32 v56, s0, 0x2800, v48
	v_add_co_ci_u32_e64 v57, s0, 0, v49, s0
	v_add_co_u32 v64, s0, v54, v52
	v_add_co_ci_u32_e64 v65, s0, v55, v53, s0
	;; [unrolled: 2-line block ×7, first 2 shown]
	s_clause 0xd
	global_load_dwordx4 v[48:51], v[50:51], off offset:1792
	global_load_dwordx4 v[52:55], v[56:57], off offset:576
	;; [unrolled: 1-line block ×4, first 2 shown]
	global_load_dwordx4 v[64:67], v[64:65], off
	global_load_dwordx4 v[68:71], v[68:69], off offset:1856
	global_load_dwordx4 v[72:75], v[76:77], off offset:640
	;; [unrolled: 1-line block ×9, first 2 shown]
	ds_write_b128 v198, v[0:3]
	ds_write_b128 v198, v[4:7] offset:832
	ds_write_b128 v198, v[8:11] offset:1664
	ds_write_b128 v198, v[12:15] offset:2496
	ds_write_b128 v198, v[16:19] offset:3328
	ds_write_b128 v198, v[20:23] offset:4160
	ds_write_b128 v198, v[24:27] offset:4992
	ds_write_b128 v198, v[28:31] offset:5824
	s_waitcnt vmcnt(17)
	ds_write_b128 v198, v[32:35] offset:6656
	s_waitcnt vmcnt(16)
	ds_write_b128 v198, v[36:39] offset:7488
	;; [unrolled: 2-line block ×18, first 2 shown]
.LBB0_13:
	s_or_b32 exec_lo, exec_lo, s1
	s_waitcnt lgkmcnt(0)
	s_waitcnt_vscnt null, 0x0
	s_barrier
	buffer_gl0_inv
	ds_read_b128 v[0:3], v198 offset:10816
	ds_read_b128 v[4:7], v198
	ds_read_b128 v[8:11], v198 offset:832
	ds_read_b128 v[12:15], v198 offset:11648
	;; [unrolled: 1-line block ×24, first 2 shown]
	v_lshl_add_u32 v104, v112, 5, 0
	v_lshl_add_u32 v105, v114, 5, 0
	;; [unrolled: 1-line block ×3, first 2 shown]
	s_waitcnt lgkmcnt(0)
	s_barrier
	v_add_f64 v[0:1], v[4:5], -v[0:1]
	v_add_f64 v[2:3], v[6:7], -v[2:3]
	v_add_f64 v[12:13], v[8:9], -v[12:13]
	v_add_f64 v[14:15], v[10:11], -v[14:15]
	buffer_gl0_inv
	v_add_f64 v[16:17], v[24:25], -v[16:17]
	v_add_f64 v[18:19], v[26:27], -v[18:19]
	;; [unrolled: 1-line block ×14, first 2 shown]
	v_lshl_add_u32 v113, v123, 5, 0
	v_and_b32_e32 v191, 1, v112
	v_lshl_add_u32 v206, v120, 5, 0
	v_fma_f64 v[4:5], v[4:5], 2.0, -v[0:1]
	v_fma_f64 v[6:7], v[6:7], 2.0, -v[2:3]
	;; [unrolled: 1-line block ×4, first 2 shown]
	ds_write_b128 v104, v[0:3] offset:16
	ds_write_b128 v105, v[12:15] offset:16
	;; [unrolled: 1-line block ×3, first 2 shown]
	v_fma_f64 v[24:25], v[24:25], 2.0, -v[16:17]
	v_fma_f64 v[26:27], v[26:27], 2.0, -v[18:19]
	;; [unrolled: 1-line block ×4, first 2 shown]
	v_add_f64 v[12:13], v[88:89], -v[84:85]
	v_add_f64 v[14:15], v[90:91], -v[86:87]
	;; [unrolled: 1-line block ×6, first 2 shown]
	v_lshlrev_b32_e32 v115, 4, v123
	v_lshl_add_u32 v202, v127, 4, 0
	v_lshl_add_u32 v201, v125, 4, 0
	;; [unrolled: 1-line block ×3, first 2 shown]
	s_mov_b32 s34, 0x4267c47c
	ds_write_b128 v104, v[4:7]
	ds_write_b128 v105, v[8:11]
	v_add_f64 v[8:9], v[76:77], -v[80:81]
	v_add_f64 v[10:11], v[78:79], -v[82:83]
	v_fma_f64 v[4:5], v[40:41], 2.0, -v[36:37]
	v_fma_f64 v[6:7], v[42:43], 2.0, -v[38:39]
	v_lshl_add_u32 v80, v126, 5, 0
	ds_write_b128 v106, v[24:27]
	v_fma_f64 v[24:25], v[44:45], 2.0, -v[48:49]
	v_fma_f64 v[26:27], v[46:47], 2.0, -v[50:51]
	;; [unrolled: 1-line block ×3, first 2 shown]
	ds_write_b128 v80, v[32:35] offset:16
	v_fma_f64 v[32:33], v[56:57], 2.0, -v[52:53]
	v_fma_f64 v[34:35], v[58:59], 2.0, -v[54:55]
	;; [unrolled: 1-line block ×3, first 2 shown]
	ds_write_b128 v80, v[0:3]
	v_fma_f64 v[44:45], v[72:73], 2.0, -v[68:69]
	v_fma_f64 v[46:47], v[74:75], 2.0, -v[70:71]
	v_lshl_add_u32 v60, v125, 5, 0
	v_fma_f64 v[56:57], v[88:89], 2.0, -v[12:13]
	v_fma_f64 v[58:59], v[90:91], 2.0, -v[14:15]
	;; [unrolled: 1-line block ×4, first 2 shown]
	v_lshl_add_u32 v61, v124, 5, 0
	v_fma_f64 v[0:1], v[76:77], 2.0, -v[8:9]
	v_fma_f64 v[2:3], v[78:79], 2.0, -v[10:11]
	v_sub_nc_u32_e32 v192, v113, v115
	ds_write_b128 v60, v[4:7]
	v_fma_f64 v[4:5], v[92:93], 2.0, -v[16:17]
	v_fma_f64 v[6:7], v[94:95], 2.0, -v[18:19]
	ds_write_b128 v60, v[36:39] offset:16
	ds_write_b128 v61, v[24:27]
	ds_write_b128 v61, v[48:51] offset:16
	v_lshl_add_u32 v60, v122, 5, 0
	ds_write_b128 v113, v[32:35]
	ds_write_b128 v113, v[52:55] offset:16
	ds_write_b128 v104, v[40:43] offset:11648
	ds_write_b128 v104, v[64:67] offset:11664
	ds_write_b128 v60, v[44:47]
	v_lshl_add_u32 v52, v121, 5, 0
	ds_write_b128 v60, v[68:71] offset:16
	s_mov_b32 s35, 0xbfddbe06
	s_mov_b32 s6, 0xe00740e9
	;; [unrolled: 1-line block ×3, first 2 shown]
	ds_write_b128 v104, v[0:3] offset:14976
	ds_write_b128 v104, v[8:11] offset:14992
	ds_write_b128 v52, v[56:59]
	v_mul_u32_u24_e32 v0, 12, v191
	ds_write_b128 v52, v[12:15] offset:16
	ds_write_b128 v104, v[4:7] offset:18304
	;; [unrolled: 1-line block ×3, first 2 shown]
	ds_write_b128 v206, v[20:23]
	ds_write_b128 v206, v[28:31] offset:16
	s_waitcnt lgkmcnt(0)
	v_lshlrev_b32_e32 v16, 4, v0
	s_barrier
	buffer_gl0_inv
	s_clause 0xb
	global_load_dwordx4 v[12:15], v16, s[8:9]
	global_load_dwordx4 v[8:11], v16, s[8:9] offset:16
	global_load_dwordx4 v[4:7], v16, s[8:9] offset:32
	;; [unrolled: 1-line block ×11, first 2 shown]
	v_lshlrev_b32_e32 v16, 4, v122
	v_lshlrev_b32_e32 v17, 4, v121
	;; [unrolled: 1-line block ×3, first 2 shown]
	buffer_store_dword v60, off, s[44:47], 0 offset:20 ; 4-byte Folded Spill
	buffer_store_dword v52, off, s[44:47], 0 offset:16 ; 4-byte Folded Spill
	v_sub_nc_u32_e32 v190, v60, v16
	v_sub_nc_u32_e32 v255, v52, v17
	;; [unrolled: 1-line block ×3, first 2 shown]
	ds_read_b128 v[56:59], v198 offset:2496
	ds_read_b128 v[60:63], v202
	ds_read_b128 v[66:69], v201
	ds_read_b128 v[70:73], v198 offset:4160
	ds_read_b128 v[74:77], v198 offset:5824
	ds_read_b128 v[78:81], v192
	ds_read_b128 v[82:85], v190
	;; [unrolled: 1-line block ×3, first 2 shown]
	ds_read_b128 v[90:93], v198 offset:7488
	ds_read_b128 v[94:97], v198 offset:9152
	ds_read_b128 v[98:101], v197
	ds_read_b128 v[102:105], v198 offset:10816
	ds_read_b128 v[108:111], v198 offset:11648
	;; [unrolled: 1-line block ×13, first 2 shown]
	ds_read_b128 v[52:55], v198
	ds_read_b128 v[16:19], v205
	s_mov_b32 s7, 0x3fec55a7
	s_mov_b32 s21, 0xbfea55e2
	s_mov_b32 s4, 0x1ea71119
	s_mov_b32 s24, 0x66966769
	s_mov_b32 s5, 0x3fe22d96
	s_mov_b32 s25, 0xbfefc445
	s_mov_b32 s10, 0xebaa3ed8
	s_mov_b32 s16, 0x2ef20147
	s_mov_b32 s11, 0x3fbedb7d
	s_mov_b32 s17, 0xbfedeba7
	s_mov_b32 s12, 0xb2365da1
	s_mov_b32 s18, 0x24c2f84
	s_mov_b32 s26, 0x4bc48dbf
	s_mov_b32 s13, 0xbfd6b1d8
	s_mov_b32 s19, 0xbfe5384d
	s_mov_b32 s27, 0xbfcea1e5
	s_mov_b32 s14, 0xd0032e0c
	s_mov_b32 s22, 0x93053d00
	s_mov_b32 s15, 0xbfe7f3cc
	s_mov_b32 s23, 0xbfef11f4
	s_mov_b32 s37, 0x3fe5384d
	s_mov_b32 s29, 0x3fefc445
	s_mov_b32 s36, s18
	s_mov_b32 s28, s24
	s_mov_b32 s31, 0x3fddbe06
	s_mov_b32 s41, 0x3fedeba7
	s_mov_b32 s30, s34
	s_mov_b32 s40, s16
	s_mov_b32 s39, 0x3fcea1e5
	s_mov_b32 s38, s26
	s_mov_b32 s43, 0x3fea55e2
	s_mov_b32 s42, s20
	s_waitcnt vmcnt(0) lgkmcnt(0)
	s_waitcnt_vscnt null, 0x0
	s_barrier
	buffer_gl0_inv
	v_cmp_gt_u32_e64 s0, 26, v112
	v_mul_f64 v[64:65], v[62:63], v[14:15]
	v_mul_f64 v[106:107], v[60:61], v[14:15]
	;; [unrolled: 1-line block ×22, first 2 shown]
	v_fma_f64 v[245:246], v[60:61], v[12:13], -v[64:65]
	v_fma_f64 v[106:107], v[62:63], v[12:13], v[106:107]
	v_mul_f64 v[42:43], v[140:141], v[26:27]
	v_mul_f64 v[46:47], v[142:143], v[26:27]
	;; [unrolled: 1-line block ×4, first 2 shown]
	v_fma_f64 v[60:61], v[138:139], v[20:21], v[6:7]
	v_fma_f64 v[64:65], v[136:137], v[20:21], -v[154:155]
	v_mul_f64 v[215:216], v[92:93], v[2:3]
	v_mul_f64 v[217:218], v[90:91], v[2:3]
	;; [unrolled: 1-line block ×6, first 2 shown]
	v_fma_f64 v[62:63], v[56:57], v[12:13], -v[144:145]
	v_fma_f64 v[58:59], v[58:59], v[12:13], v[14:15]
	v_fma_f64 v[154:155], v[66:67], v[8:9], -v[146:147]
	v_fma_f64 v[156:157], v[68:69], v[8:9], v[148:149]
	v_mul_f64 v[12:13], v[178:179], v[30:31]
	v_fma_f64 v[56:57], v[70:71], v[8:9], -v[150:151]
	v_fma_f64 v[6:7], v[72:73], v[8:9], v[10:11]
	v_mul_f64 v[8:9], v[176:177], v[30:31]
	v_mul_f64 v[243:244], v[134:135], v[34:35]
	;; [unrolled: 1-line block ×3, first 2 shown]
	v_fma_f64 v[66:67], v[142:143], v[24:25], v[42:43]
	v_fma_f64 v[68:69], v[140:141], v[24:25], -v[46:47]
	v_mul_f64 v[249:250], v[166:167], v[34:35]
	v_mul_f64 v[251:252], v[164:165], v[34:35]
	v_add_f64 v[162:163], v[106:107], -v[60:61]
	v_add_f64 v[160:161], v[245:246], -v[64:65]
	v_mul_f64 v[253:254], v[170:171], v[38:39]
	v_mul_f64 v[118:119], v[168:169], v[38:39]
	;; [unrolled: 1-line block ×6, first 2 shown]
	v_fma_f64 v[152:153], v[78:79], v[4:5], -v[152:153]
	v_fma_f64 v[2:3], v[80:81], v[4:5], v[158:159]
	v_fma_f64 v[50:51], v[74:75], v[4:5], -v[207:208]
	v_fma_f64 v[46:47], v[76:77], v[4:5], v[209:210]
	;; [unrolled: 2-line block ×7, first 2 shown]
	v_add_f64 v[158:159], v[245:246], v[64:65]
	v_add_f64 v[0:1], v[106:107], v[60:61]
	v_add_f64 v[138:139], v[156:157], -v[66:67]
	v_mul_f64 v[4:5], v[162:163], s[34:35]
	v_add_f64 v[140:141], v[154:155], -v[68:69]
	v_mul_f64 v[76:77], v[160:161], s[34:35]
	v_mul_f64 v[188:189], v[186:187], v[26:27]
	;; [unrolled: 1-line block ×5, first 2 shown]
	v_fma_f64 v[142:143], v[98:99], v[44:45], -v[227:228]
	v_fma_f64 v[108:109], v[108:109], v[40:41], -v[235:236]
	v_fma_f64 v[110:111], v[110:111], v[40:41], v[237:238]
	v_fma_f64 v[22:23], v[128:129], v[40:41], -v[239:240]
	v_fma_f64 v[10:11], v[130:131], v[40:41], v[241:242]
	;; [unrolled: 2-line block ×6, first 2 shown]
	v_add_f64 v[128:129], v[154:155], v[68:69]
	v_add_f64 v[130:131], v[156:157], v[66:67]
	v_add_f64 v[134:135], v[2:3], -v[48:49]
	v_add_f64 v[132:133], v[152:153], -v[70:71]
	v_mul_f64 v[82:83], v[138:139], s[20:21]
	v_fma_f64 v[92:93], v[158:159], s[6:7], -v[4:5]
	v_mul_f64 v[118:119], v[140:141], s[20:21]
	v_fma_f64 v[94:95], v[0:1], s[6:7], v[76:77]
	v_fma_f64 v[36:37], v[180:181], v[28:29], -v[72:73]
	v_fma_f64 v[72:73], v[158:159], s[6:7], v[4:5]
	v_fma_f64 v[136:137], v[100:101], v[44:45], v[229:230]
	v_fma_f64 v[12:13], v[102:103], v[44:45], -v[231:232]
	v_fma_f64 v[8:9], v[104:105], v[44:45], v[233:234]
	;; [unrolled: 3-line block ×3, first 2 shown]
	v_fma_f64 v[78:79], v[0:1], s[6:7], -v[76:77]
	v_add_f64 v[166:167], v[54:55], v[106:107]
	v_add_f64 v[104:105], v[152:153], v[70:71]
	v_add_f64 v[102:103], v[2:3], v[48:49]
	v_add_f64 v[106:107], v[148:149], -v[86:87]
	v_add_f64 v[100:101], v[150:151], -v[84:85]
	v_fma_f64 v[4:5], v[193:194], v[20:21], -v[80:81]
	v_fma_f64 v[20:21], v[195:196], v[20:21], v[74:75]
	v_mul_f64 v[170:171], v[134:135], s[24:25]
	v_mul_f64 v[168:169], v[132:133], s[24:25]
	v_fma_f64 v[172:173], v[128:129], s[4:5], -v[82:83]
	v_add_f64 v[180:181], v[52:53], v[92:93]
	v_fma_f64 v[174:175], v[130:131], s[4:5], v[118:119]
	v_add_f64 v[182:183], v[54:55], v[94:95]
	v_fma_f64 v[176:177], v[128:129], s[4:5], v[82:83]
	v_add_f64 v[184:185], v[52:53], v[72:73]
	v_add_f64 v[88:89], v[150:151], v[84:85]
	;; [unrolled: 1-line block ×3, first 2 shown]
	v_add_f64 v[94:95], v[144:145], -v[98:99]
	v_fma_f64 v[178:179], v[130:131], s[4:5], -v[118:119]
	v_add_f64 v[92:93], v[146:147], -v[96:97]
	v_add_f64 v[164:165], v[52:53], v[245:246]
	v_add_f64 v[186:187], v[54:55], v[78:79]
	;; [unrolled: 1-line block ×4, first 2 shown]
	v_add_f64 v[80:81], v[142:143], -v[108:109]
	v_mul_f64 v[195:196], v[106:107], s[16:17]
	v_mul_f64 v[199:200], v[100:101], s[16:17]
	;; [unrolled: 1-line block ×4, first 2 shown]
	v_fma_f64 v[203:204], v[104:105], s[10:11], -v[170:171]
	v_fma_f64 v[170:171], v[104:105], s[10:11], v[170:171]
	v_add_f64 v[82:83], v[136:137], -v[110:111]
	v_add_f64 v[172:173], v[172:173], v[180:181]
	v_fma_f64 v[180:181], v[102:103], s[10:11], v[168:169]
	v_add_f64 v[174:175], v[174:175], v[182:183]
	v_mul_f64 v[182:183], v[162:163], s[16:17]
	v_add_f64 v[176:177], v[176:177], v[184:185]
	v_mul_f64 v[184:185], v[162:163], s[18:19]
	v_fma_f64 v[168:169], v[102:103], s[10:11], -v[168:169]
	v_mul_f64 v[162:163], v[162:163], s[26:27]
	v_mul_f64 v[213:214], v[94:95], s[18:19]
	;; [unrolled: 1-line block ×3, first 2 shown]
	v_add_f64 v[74:75], v[136:137], v[110:111]
	v_add_f64 v[178:179], v[178:179], v[186:187]
	v_mul_f64 v[186:187], v[160:161], s[20:21]
	v_mul_f64 v[207:208], v[160:161], s[24:25]
	;; [unrolled: 1-line block ×3, first 2 shown]
	v_fma_f64 v[225:226], v[88:89], s[12:13], -v[195:196]
	v_mul_f64 v[211:212], v[160:161], s[18:19]
	v_mul_f64 v[160:161], v[160:161], s[26:27]
	v_mul_f64 v[219:220], v[80:81], s[26:27]
	v_add_f64 v[154:155], v[164:165], v[154:155]
	v_add_f64 v[156:157], v[166:167], v[156:157]
	v_fma_f64 v[164:165], v[158:159], s[4:5], -v[188:189]
	v_add_f64 v[172:173], v[203:204], v[172:173]
	v_fma_f64 v[203:204], v[90:91], s[12:13], v[199:200]
	v_add_f64 v[174:175], v[180:181], v[174:175]
	v_fma_f64 v[180:181], v[88:89], s[12:13], v[195:196]
	v_add_f64 v[170:171], v[170:171], v[176:177]
	v_fma_f64 v[199:200], v[90:91], s[12:13], -v[199:200]
	v_fma_f64 v[166:167], v[158:159], s[4:5], v[188:189]
	v_fma_f64 v[188:189], v[158:159], s[10:11], v[193:194]
	v_fma_f64 v[227:228], v[158:159], s[14:15], -v[184:185]
	v_fma_f64 v[184:185], v[158:159], s[14:15], v[184:185]
	v_fma_f64 v[229:230], v[158:159], s[22:23], -v[162:163]
	v_add_f64 v[168:169], v[168:169], v[178:179]
	v_fma_f64 v[178:179], v[158:159], s[10:11], -v[193:194]
	v_fma_f64 v[193:194], v[158:159], s[12:13], -v[182:183]
	v_fma_f64 v[182:183], v[158:159], s[12:13], v[182:183]
	v_fma_f64 v[158:159], v[158:159], s[22:23], v[162:163]
	v_fma_f64 v[162:163], v[76:77], s[14:15], -v[213:214]
	v_add_f64 v[72:73], v[142:143], v[108:109]
	v_mul_f64 v[217:218], v[82:83], s[26:27]
	v_mul_f64 v[221:222], v[138:139], s[16:17]
	;; [unrolled: 1-line block ×3, first 2 shown]
	v_fma_f64 v[231:232], v[0:1], s[14:15], v[211:212]
	v_add_f64 v[172:173], v[225:226], v[172:173]
	v_fma_f64 v[225:226], v[78:79], s[14:15], v[215:216]
	v_add_f64 v[174:175], v[203:204], v[174:175]
	;; [unrolled: 2-line block ×3, first 2 shown]
	v_fma_f64 v[180:181], v[0:1], s[4:5], v[186:187]
	v_fma_f64 v[186:187], v[0:1], s[4:5], -v[186:187]
	v_fma_f64 v[213:214], v[78:79], s[14:15], -v[215:216]
	v_fma_f64 v[215:216], v[0:1], s[12:13], v[209:210]
	v_fma_f64 v[209:210], v[0:1], s[12:13], -v[209:210]
	v_fma_f64 v[211:212], v[0:1], s[14:15], -v[211:212]
	v_add_f64 v[168:169], v[199:200], v[168:169]
	v_fma_f64 v[199:200], v[0:1], s[10:11], v[207:208]
	v_fma_f64 v[207:208], v[0:1], s[10:11], -v[207:208]
	v_fma_f64 v[233:234], v[0:1], s[22:23], v[160:161]
	v_fma_f64 v[0:1], v[0:1], s[22:23], -v[160:161]
	v_add_f64 v[156:157], v[156:157], v[2:3]
	v_mul_f64 v[223:224], v[140:141], s[16:17]
	v_mul_f64 v[176:177], v[134:135], s[26:27]
	;; [unrolled: 1-line block ×3, first 2 shown]
	v_add_f64 v[152:153], v[154:155], v[152:153]
	v_mul_f64 v[154:155], v[138:139], s[36:37]
	v_add_f64 v[2:3], v[162:163], v[172:173]
	v_mul_f64 v[235:236], v[140:141], s[36:37]
	;; [unrolled: 2-line block ×3, first 2 shown]
	v_add_f64 v[170:171], v[203:204], v[170:171]
	v_fma_f64 v[203:204], v[74:75], s[22:23], v[219:220]
	v_fma_f64 v[174:175], v[72:73], s[22:23], -v[217:218]
	v_fma_f64 v[217:218], v[72:73], s[22:23], v[217:218]
	v_fma_f64 v[219:220], v[74:75], s[22:23], -v[219:220]
	v_add_f64 v[164:165], v[52:53], v[164:165]
	v_add_f64 v[180:181], v[54:55], v[180:181]
	;; [unrolled: 1-line block ×3, first 2 shown]
	v_fma_f64 v[213:214], v[128:129], s[12:13], -v[221:222]
	v_add_f64 v[166:167], v[52:53], v[166:167]
	v_add_f64 v[186:187], v[54:55], v[186:187]
	;; [unrolled: 1-line block ×13, first 2 shown]
	v_fma_f64 v[221:222], v[128:129], s[12:13], v[221:222]
	v_add_f64 v[54:55], v[203:204], v[172:173]
	v_fma_f64 v[172:173], v[128:129], s[22:23], -v[195:196]
	v_fma_f64 v[195:196], v[128:129], s[22:23], v[195:196]
	v_add_f64 v[116:117], v[16:17], v[62:63]
	v_add_f64 v[118:119], v[18:19], v[58:59]
	v_add_f64 v[193:194], v[52:53], v[193:194]
	v_add_f64 v[182:183], v[52:53], v[182:183]
	v_add_f64 v[184:185], v[52:53], v[184:185]
	v_add_f64 v[229:230], v[52:53], v[229:230]
	v_add_f64 v[158:159], v[52:53], v[158:159]
	v_fma_f64 v[237:238], v[130:131], s[12:13], v[223:224]
	v_fma_f64 v[223:224], v[130:131], s[12:13], -v[223:224]
	v_add_f64 v[52:53], v[174:175], v[2:3]
	v_fma_f64 v[174:175], v[130:131], s[22:23], v[160:161]
	v_add_f64 v[0:1], v[217:218], v[170:171]
	v_add_f64 v[2:3], v[219:220], v[168:169]
	v_mul_f64 v[168:169], v[132:133], s[26:27]
	v_fma_f64 v[160:161], v[130:131], s[22:23], -v[160:161]
	v_fma_f64 v[170:171], v[128:129], s[14:15], -v[154:155]
	v_add_f64 v[150:151], v[152:153], v[150:151]
	v_fma_f64 v[152:153], v[130:131], s[14:15], v[235:236]
	v_add_f64 v[148:149], v[156:157], v[148:149]
	v_mul_f64 v[156:157], v[134:135], s[40:41]
	v_add_f64 v[164:165], v[213:214], v[164:165]
	v_mul_f64 v[203:204], v[132:133], s[40:41]
	v_fma_f64 v[154:155], v[128:129], s[14:15], v[154:155]
	v_fma_f64 v[213:214], v[130:131], s[14:15], -v[235:236]
	v_fma_f64 v[217:218], v[128:129], s[10:11], -v[162:163]
	v_add_f64 v[166:167], v[221:222], v[166:167]
	v_mul_f64 v[221:222], v[106:107], s[36:37]
	v_add_f64 v[172:173], v[172:173], v[178:179]
	v_mul_f64 v[178:179], v[134:135], s[30:31]
	v_add_f64 v[188:189], v[195:196], v[188:189]
	v_fma_f64 v[195:196], v[104:105], s[22:23], -v[176:177]
	v_fma_f64 v[176:177], v[104:105], s[22:23], v[176:177]
	v_mul_f64 v[239:240], v[140:141], s[28:29]
	v_add_f64 v[180:181], v[237:238], v[180:181]
	v_add_f64 v[186:187], v[223:224], v[186:187]
	;; [unrolled: 1-line block ×3, first 2 shown]
	v_mul_f64 v[199:200], v[132:133], s[30:31]
	v_add_f64 v[160:161], v[160:161], v[207:208]
	v_mul_f64 v[207:208], v[100:101], s[36:37]
	v_add_f64 v[170:171], v[170:171], v[193:194]
	v_fma_f64 v[193:194], v[102:103], s[22:23], v[168:169]
	v_add_f64 v[152:153], v[152:153], v[215:216]
	v_mul_f64 v[215:216], v[94:95], s[28:29]
	v_fma_f64 v[168:169], v[102:103], s[22:23], -v[168:169]
	v_add_f64 v[154:155], v[154:155], v[182:183]
	v_fma_f64 v[182:183], v[104:105], s[12:13], -v[156:157]
	v_add_f64 v[209:210], v[213:214], v[209:210]
	v_mul_f64 v[213:214], v[106:107], s[30:31]
	v_add_f64 v[217:218], v[217:218], v[225:226]
	v_fma_f64 v[223:224], v[102:103], s[12:13], v[203:204]
	v_mul_f64 v[225:226], v[100:101], s[30:31]
	v_fma_f64 v[156:157], v[104:105], s[12:13], v[156:157]
	v_fma_f64 v[203:204], v[102:103], s[12:13], -v[203:204]
	v_add_f64 v[146:147], v[150:151], v[146:147]
	v_fma_f64 v[150:151], v[104:105], s[6:7], -v[178:179]
	v_add_f64 v[164:165], v[195:196], v[164:165]
	v_add_f64 v[166:167], v[176:177], v[166:167]
	v_fma_f64 v[176:177], v[88:89], s[14:15], -v[221:222]
	v_fma_f64 v[221:222], v[88:89], s[14:15], v[221:222]
	v_add_f64 v[116:117], v[116:117], v[56:57]
	v_add_f64 v[118:119], v[118:119], v[6:7]
	v_fma_f64 v[219:220], v[130:131], s[10:11], v[239:240]
	v_add_f64 v[144:145], v[148:149], v[144:145]
	v_fma_f64 v[148:149], v[102:103], s[6:7], v[199:200]
	v_mul_f64 v[195:196], v[92:93], s[28:29]
	v_add_f64 v[180:181], v[193:194], v[180:181]
	v_mul_f64 v[193:194], v[82:83], s[30:31]
	v_add_f64 v[168:169], v[168:169], v[186:187]
	v_fma_f64 v[186:187], v[90:91], s[14:15], v[207:208]
	v_add_f64 v[172:173], v[182:183], v[172:173]
	v_fma_f64 v[207:208], v[90:91], s[14:15], -v[207:208]
	v_add_f64 v[174:175], v[223:224], v[174:175]
	v_mul_f64 v[223:224], v[94:95], s[20:21]
	v_add_f64 v[156:157], v[156:157], v[188:189]
	v_mul_f64 v[188:189], v[92:93], s[20:21]
	v_add_f64 v[160:161], v[203:204], v[160:161]
	v_fma_f64 v[203:204], v[88:89], s[6:7], -v[213:214]
	v_add_f64 v[170:171], v[150:151], v[170:171]
	v_fma_f64 v[150:151], v[90:91], s[6:7], v[225:226]
	v_fma_f64 v[213:214], v[88:89], s[6:7], v[213:214]
	v_add_f64 v[164:165], v[176:177], v[164:165]
	v_fma_f64 v[176:177], v[76:77], s[10:11], -v[215:216]
	v_add_f64 v[166:167], v[221:222], v[166:167]
	v_fma_f64 v[215:216], v[76:77], s[10:11], v[215:216]
	v_add_f64 v[116:117], v[116:117], v[50:51]
	v_add_f64 v[118:119], v[118:119], v[46:47]
	v_fma_f64 v[199:200], v[102:103], s[6:7], -v[199:200]
	v_add_f64 v[219:220], v[219:220], v[227:228]
	v_mul_f64 v[182:183], v[80:81], s[30:31]
	v_add_f64 v[152:153], v[148:149], v[152:153]
	v_mul_f64 v[148:149], v[82:83], s[18:19]
	v_fma_f64 v[225:226], v[90:91], s[6:7], -v[225:226]
	v_add_f64 v[180:181], v[186:187], v[180:181]
	v_fma_f64 v[186:187], v[78:79], s[10:11], v[195:196]
	v_mul_f64 v[221:222], v[132:133], s[20:21]
	v_fma_f64 v[195:196], v[78:79], s[10:11], -v[195:196]
	v_add_f64 v[168:169], v[207:208], v[168:169]
	v_mul_f64 v[207:208], v[106:107], s[24:25]
	v_add_f64 v[172:173], v[203:204], v[172:173]
	v_fma_f64 v[203:204], v[76:77], s[4:5], -v[223:224]
	v_add_f64 v[150:151], v[150:151], v[174:175]
	v_fma_f64 v[174:175], v[78:79], s[4:5], v[188:189]
	v_add_f64 v[156:157], v[213:214], v[156:157]
	v_fma_f64 v[223:224], v[76:77], s[4:5], v[223:224]
	v_add_f64 v[227:228], v[146:147], v[142:143]
	v_fma_f64 v[142:143], v[78:79], s[4:5], -v[188:189]
	v_add_f64 v[164:165], v[176:177], v[164:165]
	v_add_f64 v[166:167], v[215:216], v[166:167]
	v_fma_f64 v[188:189], v[72:73], s[6:7], -v[193:194]
	v_fma_f64 v[193:194], v[72:73], s[6:7], v[193:194]
	v_add_f64 v[237:238], v[144:145], v[136:137]
	v_mul_f64 v[243:244], v[138:139], s[30:31]
	v_mul_f64 v[245:246], v[140:141], s[30:31]
	v_add_f64 v[116:117], v[116:117], v[42:43]
	v_add_f64 v[118:119], v[118:119], v[38:39]
	v_fma_f64 v[178:179], v[104:105], s[6:7], v[178:179]
	v_add_f64 v[199:200], v[199:200], v[209:210]
	v_mul_f64 v[209:210], v[134:135], s[20:21]
	v_add_f64 v[146:147], v[225:226], v[160:161]
	v_mul_f64 v[160:161], v[100:101], s[38:39]
	v_mul_f64 v[176:177], v[94:95], s[38:39]
	v_add_f64 v[168:169], v[195:196], v[168:169]
	v_fma_f64 v[195:196], v[74:75], s[6:7], v[182:183]
	v_add_f64 v[172:173], v[203:204], v[172:173]
	v_fma_f64 v[203:204], v[102:103], s[4:5], v[221:222]
	v_fma_f64 v[182:183], v[74:75], s[6:7], -v[182:183]
	v_add_f64 v[150:151], v[174:175], v[150:151]
	v_fma_f64 v[174:175], v[72:73], s[14:15], -v[148:149]
	v_add_f64 v[156:157], v[223:224], v[156:157]
	v_fma_f64 v[148:149], v[72:73], s[14:15], v[148:149]
	v_fma_f64 v[225:226], v[88:89], s[10:11], -v[207:208]
	v_fma_f64 v[162:163], v[128:129], s[10:11], v[162:163]
	v_fma_f64 v[239:240], v[130:131], s[10:11], -v[239:240]
	v_add_f64 v[136:137], v[188:189], v[164:165]
	v_add_f64 v[140:141], v[193:194], v[166:167]
	;; [unrolled: 1-line block ×4, first 2 shown]
	v_fma_f64 v[164:165], v[128:129], s[6:7], -v[243:244]
	v_fma_f64 v[166:167], v[130:131], s[6:7], v[245:246]
	v_fma_f64 v[128:129], v[128:129], s[6:7], v[243:244]
	v_mul_f64 v[134:135], v[134:135], s[18:19]
	v_mul_f64 v[132:133], v[132:133], s[18:19]
	v_add_f64 v[116:117], v[116:117], v[30:31]
	v_add_f64 v[118:119], v[118:119], v[14:15]
	v_fma_f64 v[130:131], v[130:131], s[6:7], -v[245:246]
	v_add_f64 v[154:155], v[178:179], v[154:155]
	v_mul_f64 v[178:179], v[80:81], s[18:19]
	v_mul_f64 v[213:214], v[100:101], s[24:25]
	v_add_f64 v[180:181], v[186:187], v[180:181]
	v_fma_f64 v[186:187], v[104:105], s[4:5], -v[209:210]
	v_mul_f64 v[235:236], v[106:107], s[38:39]
	v_add_f64 v[223:224], v[142:143], v[146:147]
	v_fma_f64 v[207:208], v[88:89], s[10:11], v[207:208]
	v_add_f64 v[203:204], v[203:204], v[219:220]
	v_add_f64 v[142:143], v[182:183], v[168:169]
	;; [unrolled: 1-line block ×5, first 2 shown]
	v_fma_f64 v[172:173], v[90:91], s[22:23], v[160:161]
	v_fma_f64 v[174:175], v[76:77], s[22:23], -v[176:177]
	v_add_f64 v[162:163], v[162:163], v[184:185]
	v_add_f64 v[182:183], v[239:240], v[211:212]
	v_fma_f64 v[184:185], v[104:105], s[4:5], v[209:210]
	v_fma_f64 v[188:189], v[102:103], s[4:5], -v[221:222]
	v_add_f64 v[96:97], v[108:109], v[96:97]
	v_add_f64 v[98:99], v[110:111], v[98:99]
	;; [unrolled: 1-line block ×5, first 2 shown]
	v_fma_f64 v[158:159], v[104:105], s[14:15], -v[134:135]
	v_fma_f64 v[164:165], v[102:103], s[14:15], v[132:133]
	v_mul_f64 v[106:107], v[106:107], s[42:43]
	v_add_f64 v[116:117], v[116:117], v[12:13]
	v_add_f64 v[118:119], v[118:119], v[8:9]
	;; [unrolled: 1-line block ×3, first 2 shown]
	v_fma_f64 v[104:105], v[104:105], s[14:15], v[134:135]
	v_fma_f64 v[102:103], v[102:103], s[14:15], -v[132:133]
	v_mul_f64 v[100:101], v[100:101], s[42:43]
	v_fma_f64 v[215:216], v[74:75], s[14:15], v[178:179]
	v_fma_f64 v[178:179], v[74:75], s[14:15], -v[178:179]
	v_mul_f64 v[241:242], v[92:93], s[38:39]
	v_add_f64 v[186:187], v[186:187], v[217:218]
	v_fma_f64 v[217:218], v[90:91], s[10:11], v[213:214]
	v_add_f64 v[138:139], v[195:196], v[180:181]
	v_add_f64 v[154:155], v[207:208], v[154:155]
	v_mul_f64 v[180:181], v[94:95], s[30:31]
	v_add_f64 v[134:135], v[172:173], v[203:204]
	v_add_f64 v[156:157], v[174:175], v[156:157]
	v_fma_f64 v[166:167], v[76:77], s[22:23], v[176:177]
	v_mul_f64 v[172:173], v[92:93], s[30:31]
	v_add_f64 v[162:163], v[184:185], v[162:163]
	v_add_f64 v[174:175], v[188:189], v[182:183]
	v_fma_f64 v[176:177], v[88:89], s[22:23], v[235:236]
	v_fma_f64 v[160:161], v[90:91], s[22:23], -v[160:161]
	v_add_f64 v[84:85], v[96:97], v[84:85]
	v_add_f64 v[86:87], v[98:99], v[86:87]
	;; [unrolled: 1-line block ×4, first 2 shown]
	v_fma_f64 v[108:109], v[88:89], s[4:5], -v[106:107]
	v_mul_f64 v[110:111], v[82:83], s[42:43]
	v_add_f64 v[116:117], v[116:117], v[22:23]
	v_add_f64 v[118:119], v[118:119], v[10:11]
	v_fma_f64 v[213:214], v[90:91], s[10:11], -v[213:214]
	v_fma_f64 v[170:171], v[88:89], s[22:23], -v[235:236]
	v_add_f64 v[104:105], v[104:105], v[128:129]
	v_add_f64 v[102:103], v[102:103], v[130:131]
	v_fma_f64 v[128:129], v[90:91], s[4:5], v[100:101]
	v_fma_f64 v[90:91], v[90:91], s[4:5], -v[100:101]
	v_mul_f64 v[92:93], v[92:93], s[16:17]
	v_add_f64 v[146:147], v[215:216], v[150:151]
	v_add_f64 v[150:151], v[178:179], v[223:224]
	;; [unrolled: 1-line block ×3, first 2 shown]
	v_fma_f64 v[178:179], v[78:79], s[22:23], v[241:242]
	v_mul_f64 v[94:95], v[94:95], s[16:17]
	v_fma_f64 v[88:89], v[88:89], s[4:5], v[106:107]
	v_add_f64 v[100:101], v[166:167], v[154:155]
	v_fma_f64 v[130:131], v[78:79], s[6:7], v[172:173]
	v_add_f64 v[154:155], v[176:177], v[162:163]
	v_add_f64 v[158:159], v[160:161], v[174:175]
	v_fma_f64 v[160:161], v[76:77], s[6:7], v[180:181]
	v_mul_f64 v[162:163], v[80:81], s[42:43]
	v_fma_f64 v[164:165], v[78:79], s[6:7], -v[172:173]
	v_add_f64 v[70:71], v[84:85], v[70:71]
	v_mul_f64 v[166:167], v[80:81], s[16:17]
	v_add_f64 v[48:49], v[86:87], v[48:49]
	v_add_f64 v[86:87], v[108:109], v[96:97]
	v_fma_f64 v[96:97], v[72:73], s[4:5], -v[110:111]
	v_add_f64 v[108:109], v[116:117], v[34:35]
	v_add_f64 v[116:117], v[118:119], v[26:27]
	;; [unrolled: 1-line block ×4, first 2 shown]
	v_fma_f64 v[170:171], v[78:79], s[22:23], -v[241:242]
	v_mul_f64 v[84:85], v[82:83], s[16:17]
	v_add_f64 v[98:99], v[128:129], v[98:99]
	v_add_f64 v[90:91], v[90:91], v[102:103]
	v_fma_f64 v[102:103], v[78:79], s[12:13], v[92:93]
	v_mul_f64 v[80:81], v[80:81], s[28:29]
	v_add_f64 v[152:153], v[178:179], v[152:153]
	v_fma_f64 v[178:179], v[76:77], s[6:7], -v[180:181]
	v_fma_f64 v[118:119], v[76:77], s[12:13], -v[94:95]
	v_add_f64 v[88:89], v[88:89], v[104:105]
	v_mul_f64 v[82:83], v[82:83], s[28:29]
	v_fma_f64 v[76:77], v[76:77], s[12:13], v[94:95]
	v_fma_f64 v[78:79], v[78:79], s[12:13], -v[92:93]
	v_add_f64 v[92:93], v[130:131], v[134:135]
	v_add_f64 v[94:95], v[160:161], v[154:155]
	v_fma_f64 v[104:105], v[74:75], s[4:5], v[162:163]
	v_add_f64 v[128:129], v[164:165], v[158:159]
	v_fma_f64 v[110:111], v[72:73], s[4:5], v[110:111]
	v_fma_f64 v[154:155], v[74:75], s[12:13], v[166:167]
	v_add_f64 v[158:159], v[70:71], v[68:69]
	v_add_f64 v[48:49], v[48:49], v[66:67]
	;; [unrolled: 1-line block ×5, first 2 shown]
	v_add_f64 v[116:117], v[58:59], -v[20:21]
	v_add_f64 v[106:107], v[170:171], v[168:169]
	v_fma_f64 v[130:131], v[74:75], s[4:5], -v[162:163]
	v_fma_f64 v[134:135], v[72:73], s[12:13], -v[84:85]
	v_fma_f64 v[84:85], v[72:73], s[12:13], v[84:85]
	v_add_f64 v[98:99], v[102:103], v[98:99]
	v_fma_f64 v[156:157], v[74:75], s[10:11], v[80:81]
	v_add_f64 v[86:87], v[118:119], v[86:87]
	v_fma_f64 v[102:103], v[72:73], s[10:11], -v[82:83]
	v_add_f64 v[88:89], v[76:77], v[88:89]
	v_add_f64 v[90:91], v[78:79], v[90:91]
	v_fma_f64 v[160:161], v[72:73], s[10:11], v[82:83]
	v_fma_f64 v[162:163], v[74:75], s[10:11], -v[80:81]
	v_fma_f64 v[118:119], v[74:75], s[12:13], -v[166:167]
	v_add_f64 v[68:69], v[104:105], v[152:153]
	v_add_f64 v[104:105], v[62:63], -v[4:5]
	v_add_f64 v[70:71], v[110:111], v[100:101]
	v_add_f64 v[76:77], v[154:155], v[92:93]
	;; [unrolled: 1-line block ×7, first 2 shown]
	v_mul_f64 v[96:97], v[116:117], s[34:35]
	v_add_f64 v[100:101], v[6:7], -v[24:25]
	v_add_f64 v[132:133], v[178:179], v[132:133]
	v_lshrrev_b32_e32 v60, 1, v112
	v_add_f64 v[72:73], v[130:131], v[106:107]
	v_subrev_nc_u32_e32 v207, 26, v112
	v_add_f64 v[82:83], v[102:103], v[86:87]
	v_mul_u32_u24_e32 v106, 26, v60
	v_add_f64 v[60:61], v[84:85], v[94:95]
	v_add_f64 v[84:85], v[156:157], v[98:99]
	;; [unrolled: 1-line block ×4, first 2 shown]
	v_or_b32_e32 v98, v106, v191
	v_add_f64 v[90:91], v[58:59], v[20:21]
	v_add_f64 v[62:63], v[118:119], v[128:129]
	v_mul_f64 v[94:95], v[104:105], s[34:35]
	v_mul_f64 v[108:109], v[104:105], s[16:17]
	v_lshl_add_u32 v58, v98, 4, 0
	v_add_f64 v[98:99], v[56:57], -v[44:45]
	ds_write_b128 v58, v[78:81]
	ds_write_b128 v58, v[52:55] offset:32
	ds_write_b128 v58, v[136:139] offset:64
	v_add_f64 v[78:79], v[48:49], v[44:45]
	v_add_f64 v[64:65], v[64:65], v[24:25]
	v_fma_f64 v[80:81], v[92:93], s[6:7], -v[96:97]
	v_add_f64 v[44:45], v[56:57], v[44:45]
	v_mul_f64 v[56:57], v[100:101], s[20:21]
	v_add_f64 v[48:49], v[46:47], -v[28:29]
	v_add_f64 v[74:75], v[134:135], v[132:133]
	ds_write_b128 v58, v[144:147] offset:96
	ds_write_b128 v58, v[66:69] offset:128
	;; [unrolled: 1-line block ×4, first 2 shown]
	v_mul_f64 v[66:67], v[116:117], s[20:21]
	ds_write_b128 v58, v[86:89] offset:224
	v_mul_f64 v[68:69], v[116:117], s[24:25]
	v_fma_f64 v[74:75], v[90:91], s[6:7], v[94:95]
	v_add_f64 v[52:53], v[6:7], v[24:25]
	v_mul_f64 v[76:77], v[98:99], s[20:21]
	ds_write_b128 v58, v[60:63] offset:256
	v_add_f64 v[54:55], v[50:51], -v[36:37]
	ds_write_b128 v58, v[70:73] offset:288
	ds_write_b128 v58, v[148:151] offset:320
	;; [unrolled: 1-line block ×3, first 2 shown]
	v_mul_f64 v[59:60], v[116:117], s[16:17]
	v_mul_f64 v[61:62], v[116:117], s[18:19]
	v_add_f64 v[6:7], v[64:65], v[20:21]
	v_add_f64 v[20:21], v[16:17], v[80:81]
	v_fma_f64 v[63:64], v[44:45], s[4:5], -v[56:57]
	v_add_f64 v[24:25], v[50:51], v[36:37]
	v_mul_f64 v[70:71], v[48:49], s[24:25]
	v_mul_f64 v[72:73], v[116:117], s[26:27]
	v_add_f64 v[36:37], v[38:39], -v[32:33]
	v_add_f64 v[4:5], v[78:79], v[4:5]
	v_fma_f64 v[78:79], v[92:93], s[6:7], v[96:97]
	v_mul_f64 v[84:85], v[104:105], s[20:21]
	v_add_f64 v[46:47], v[46:47], v[28:29]
	v_fma_f64 v[80:81], v[92:93], s[4:5], -v[66:67]
	v_fma_f64 v[65:66], v[92:93], s[4:5], v[66:67]
	v_fma_f64 v[82:83], v[92:93], s[10:11], -v[68:69]
	v_add_f64 v[74:75], v[18:19], v[74:75]
	v_fma_f64 v[67:68], v[92:93], s[10:11], v[68:69]
	v_fma_f64 v[86:87], v[52:53], s[4:5], v[76:77]
	v_add_f64 v[50:51], v[42:43], -v[40:41]
	v_mul_f64 v[88:89], v[54:55], s[24:25]
	v_mul_f64 v[96:97], v[104:105], s[24:25]
	v_fma_f64 v[102:103], v[92:93], s[12:13], -v[59:60]
	v_fma_f64 v[59:60], v[92:93], s[12:13], v[59:60]
	v_fma_f64 v[106:107], v[92:93], s[14:15], -v[61:62]
	v_fma_f64 v[61:62], v[92:93], s[14:15], v[61:62]
	v_mul_f64 v[110:111], v[104:105], s[18:19]
	v_add_f64 v[20:21], v[63:64], v[20:21]
	v_fma_f64 v[63:64], v[24:25], s[10:11], -v[70:71]
	v_add_f64 v[28:29], v[42:43], v[40:41]
	v_mul_f64 v[42:43], v[36:37], s[16:17]
	v_fma_f64 v[116:117], v[92:93], s[22:23], -v[72:73]
	v_add_f64 v[40:41], v[14:15], -v[26:27]
	v_fma_f64 v[94:95], v[90:91], s[6:7], -v[94:95]
	v_fma_f64 v[72:73], v[92:93], s[22:23], v[72:73]
	v_mul_f64 v[92:93], v[104:105], s[26:27]
	v_add_f64 v[78:79], v[16:17], v[78:79]
	v_fma_f64 v[56:57], v[44:45], s[4:5], v[56:57]
	v_fma_f64 v[104:105], v[90:91], s[4:5], v[84:85]
	v_fma_f64 v[84:85], v[90:91], s[4:5], -v[84:85]
	v_add_f64 v[74:75], v[86:87], v[74:75]
	v_add_f64 v[32:33], v[38:39], v[32:33]
	v_fma_f64 v[86:87], v[46:47], s[10:11], v[88:89]
	v_mul_f64 v[118:119], v[50:51], s[16:17]
	v_fma_f64 v[128:129], v[90:91], s[10:11], v[96:97]
	v_add_f64 v[38:39], v[30:31], -v[34:35]
	v_fma_f64 v[96:97], v[90:91], s[10:11], -v[96:97]
	v_fma_f64 v[130:131], v[90:91], s[12:13], v[108:109]
	v_fma_f64 v[108:109], v[90:91], s[12:13], -v[108:109]
	v_fma_f64 v[132:133], v[90:91], s[14:15], v[110:111]
	v_fma_f64 v[110:111], v[90:91], s[14:15], -v[110:111]
	v_add_f64 v[20:21], v[63:64], v[20:21]
	v_fma_f64 v[63:64], v[28:29], s[12:13], -v[42:43]
	v_add_f64 v[30:31], v[30:31], v[34:35]
	v_mul_f64 v[34:35], v[40:41], s[18:19]
	v_add_f64 v[94:95], v[18:19], v[94:95]
	v_add_f64 v[134:135], v[8:9], -v[10:11]
	v_fma_f64 v[76:77], v[52:53], s[4:5], -v[76:77]
	v_fma_f64 v[136:137], v[90:91], s[22:23], v[92:93]
	v_fma_f64 v[90:91], v[90:91], s[22:23], -v[92:93]
	v_mul_f64 v[92:93], v[100:101], s[16:17]
	v_add_f64 v[56:57], v[56:57], v[78:79]
	v_fma_f64 v[69:70], v[24:25], s[10:11], v[70:71]
	v_add_f64 v[80:81], v[16:17], v[80:81]
	v_add_f64 v[74:75], v[86:87], v[74:75]
	v_fma_f64 v[86:87], v[32:33], s[12:13], v[118:119]
	v_add_f64 v[14:15], v[14:15], v[26:27]
	v_mul_f64 v[26:27], v[38:39], s[18:19]
	v_add_f64 v[138:139], v[12:13], -v[22:23]
	v_add_f64 v[78:79], v[18:19], v[104:105]
	v_add_f64 v[104:105], v[18:19], v[128:129]
	;; [unrolled: 1-line block ×3, first 2 shown]
	v_mul_f64 v[140:141], v[48:49], s[26:27]
	v_add_f64 v[142:143], v[8:9], v[10:11]
	v_add_f64 v[20:21], v[63:64], v[20:21]
	v_fma_f64 v[10:11], v[28:29], s[12:13], v[42:43]
	v_fma_f64 v[63:64], v[30:31], s[14:15], -v[34:35]
	v_add_f64 v[65:66], v[16:17], v[65:66]
	v_mul_f64 v[12:13], v[134:135], s[26:27]
	v_add_f64 v[22:23], v[76:77], v[94:95]
	v_fma_f64 v[76:77], v[46:47], s[10:11], -v[88:89]
	v_mul_f64 v[88:89], v[98:99], s[16:17]
	v_fma_f64 v[94:95], v[44:45], s[12:13], -v[92:93]
	v_add_f64 v[42:43], v[18:19], v[130:131]
	v_add_f64 v[8:9], v[69:70], v[56:57]
	;; [unrolled: 1-line block ×6, first 2 shown]
	v_fma_f64 v[86:87], v[14:15], s[14:15], v[26:27]
	v_mul_f64 v[144:145], v[138:139], s[26:27]
	v_mul_f64 v[106:107], v[100:101], s[26:27]
	;; [unrolled: 1-line block ×3, first 2 shown]
	v_add_f64 v[130:131], v[18:19], v[132:133]
	v_mul_f64 v[132:133], v[54:55], s[26:27]
	v_mul_f64 v[146:147], v[36:37], s[36:37]
	v_fma_f64 v[118:119], v[32:33], s[12:13], -v[118:119]
	v_add_f64 v[84:85], v[18:19], v[84:85]
	v_add_f64 v[20:21], v[63:64], v[20:21]
	;; [unrolled: 1-line block ×3, first 2 shown]
	v_fma_f64 v[63:64], v[128:129], s[22:23], -v[12:13]
	v_add_f64 v[67:68], v[16:17], v[67:68]
	v_add_f64 v[22:23], v[76:77], v[22:23]
	v_fma_f64 v[76:77], v[52:53], s[12:13], v[88:89]
	v_add_f64 v[80:81], v[94:95], v[80:81]
	v_fma_f64 v[94:95], v[24:25], s[22:23], -v[140:141]
	v_add_f64 v[148:149], v[10:11], v[8:9]
	v_fma_f64 v[10:11], v[44:45], s[12:13], v[92:93]
	v_add_f64 v[96:97], v[18:19], v[96:97]
	v_add_f64 v[110:111], v[18:19], v[110:111]
	v_fma_f64 v[88:89], v[52:53], s[12:13], -v[88:89]
	v_add_f64 v[74:75], v[86:87], v[74:75]
	v_fma_f64 v[86:87], v[142:143], s[22:23], v[144:145]
	v_add_f64 v[92:93], v[18:19], v[136:137]
	v_fma_f64 v[136:137], v[44:45], s[22:23], -v[106:107]
	v_fma_f64 v[150:151], v[52:53], s[22:23], v[108:109]
	v_mul_f64 v[152:153], v[48:49], s[40:41]
	v_mul_f64 v[154:155], v[54:55], s[40:41]
	v_add_f64 v[90:91], v[18:19], v[90:91]
	v_fma_f64 v[18:19], v[44:45], s[22:23], v[106:107]
	v_add_f64 v[102:103], v[16:17], v[102:103]
	v_add_f64 v[61:62], v[16:17], v[61:62]
	;; [unrolled: 1-line block ×6, first 2 shown]
	v_fma_f64 v[63:64], v[46:47], s[22:23], v[132:133]
	v_add_f64 v[20:21], v[94:95], v[80:81]
	v_mul_f64 v[80:81], v[100:101], s[36:37]
	v_mul_f64 v[94:95], v[98:99], s[36:37]
	v_fma_f64 v[76:77], v[28:29], s[14:15], -v[146:147]
	v_mul_f64 v[78:79], v[50:51], s[36:37]
	v_add_f64 v[22:23], v[118:119], v[22:23]
	v_mul_f64 v[106:107], v[40:41], s[28:29]
	v_add_f64 v[65:66], v[10:11], v[65:66]
	v_fma_f64 v[118:119], v[24:25], s[22:23], v[140:141]
	v_fma_f64 v[34:35], v[30:31], s[14:15], v[34:35]
	v_add_f64 v[84:85], v[88:89], v[84:85]
	v_fma_f64 v[88:89], v[46:47], s[22:23], -v[132:133]
	v_add_f64 v[82:83], v[136:137], v[82:83]
	v_add_f64 v[104:105], v[150:151], v[104:105]
	v_fma_f64 v[132:133], v[24:25], s[12:13], -v[152:153]
	v_fma_f64 v[136:137], v[46:47], s[12:13], v[154:155]
	v_mul_f64 v[140:141], v[36:37], s[30:31]
	v_mul_f64 v[150:151], v[50:51], s[30:31]
	v_add_f64 v[10:11], v[86:87], v[74:75]
	v_fma_f64 v[73:74], v[52:53], s[22:23], -v[108:109]
	v_add_f64 v[18:19], v[18:19], v[67:68]
	v_fma_f64 v[67:68], v[24:25], s[12:13], v[152:153]
	v_mul_f64 v[108:109], v[48:49], s[30:31]
	v_fma_f64 v[86:87], v[44:45], s[14:15], -v[80:81]
	v_fma_f64 v[152:153], v[52:53], s[14:15], v[94:95]
	v_mul_f64 v[156:157], v[54:55], s[30:31]
	v_add_f64 v[63:64], v[63:64], v[16:17]
	v_add_f64 v[20:21], v[76:77], v[20:21]
	v_fma_f64 v[75:76], v[32:33], s[14:15], v[78:79]
	v_fma_f64 v[158:159], v[30:31], s[10:11], -v[106:107]
	v_add_f64 v[65:66], v[118:119], v[65:66]
	v_mul_f64 v[118:119], v[134:135], s[30:31]
	v_fma_f64 v[77:78], v[32:33], s[14:15], -v[78:79]
	v_add_f64 v[84:85], v[88:89], v[84:85]
	v_fma_f64 v[88:89], v[28:29], s[14:15], v[146:147]
	v_mul_f64 v[146:147], v[40:41], s[20:21]
	v_add_f64 v[82:83], v[132:133], v[82:83]
	v_add_f64 v[104:105], v[136:137], v[104:105]
	v_fma_f64 v[132:133], v[28:29], s[6:7], -v[140:141]
	v_fma_f64 v[136:137], v[32:33], s[6:7], v[150:151]
	v_fma_f64 v[154:155], v[46:47], s[12:13], -v[154:155]
	v_add_f64 v[73:74], v[73:74], v[96:97]
	v_fma_f64 v[140:141], v[28:29], s[6:7], v[140:141]
	v_add_f64 v[67:68], v[67:68], v[18:19]
	v_add_f64 v[16:17], v[34:35], v[148:149]
	;; [unrolled: 1-line block ×3, first 2 shown]
	v_fma_f64 v[86:87], v[24:25], s[6:7], -v[108:109]
	v_add_f64 v[42:43], v[152:153], v[42:43]
	v_fma_f64 v[102:103], v[46:47], s[6:7], v[156:157]
	v_mul_f64 v[148:149], v[36:37], s[24:25]
	v_mul_f64 v[160:161], v[38:39], s[28:29]
	v_add_f64 v[63:64], v[75:76], v[63:64]
	v_add_f64 v[75:76], v[158:159], v[20:21]
	v_fma_f64 v[158:159], v[128:129], s[6:7], -v[118:119]
	v_fma_f64 v[26:27], v[14:15], s[14:15], -v[26:27]
	v_add_f64 v[77:78], v[77:78], v[84:85]
	v_add_f64 v[65:66], v[88:89], v[65:66]
	v_fma_f64 v[84:85], v[30:31], s[10:11], v[106:107]
	v_fma_f64 v[106:107], v[30:31], s[4:5], -v[146:147]
	v_fma_f64 v[20:21], v[128:129], s[22:23], v[12:13]
	v_add_f64 v[82:83], v[132:133], v[82:83]
	v_add_f64 v[104:105], v[136:137], v[104:105]
	v_fma_f64 v[136:137], v[32:33], s[6:7], -v[150:151]
	v_add_f64 v[73:74], v[154:155], v[73:74]
	v_mul_f64 v[96:97], v[38:39], s[20:21]
	v_add_f64 v[67:68], v[140:141], v[67:68]
	v_fma_f64 v[140:141], v[30:31], s[4:5], v[146:147]
	v_mul_f64 v[146:147], v[100:101], s[28:29]
	v_add_f64 v[34:35], v[86:87], v[34:35]
	v_fma_f64 v[79:80], v[44:45], s[14:15], v[80:81]
	v_add_f64 v[42:43], v[102:103], v[42:43]
	v_fma_f64 v[86:87], v[28:29], s[10:11], -v[148:149]
	v_mul_f64 v[102:103], v[98:99], s[28:29]
	v_fma_f64 v[152:153], v[14:15], s[10:11], v[160:161]
	v_mul_f64 v[98:99], v[98:99], s[30:31]
	v_add_f64 v[12:13], v[158:159], v[75:76]
	v_mul_f64 v[75:76], v[100:101], s[30:31]
	v_add_f64 v[18:19], v[26:27], v[22:23]
	v_mul_f64 v[26:27], v[50:51], s[24:25]
	v_fma_f64 v[22:23], v[142:143], s[22:23], -v[144:145]
	v_add_f64 v[65:66], v[84:85], v[65:66]
	v_fma_f64 v[94:95], v[52:53], s[14:15], -v[94:95]
	v_add_f64 v[81:82], v[106:107], v[82:83]
	v_mul_f64 v[144:145], v[54:55], s[20:21]
	v_mul_f64 v[54:55], v[54:55], s[18:19]
	v_add_f64 v[73:74], v[136:137], v[73:74]
	v_mul_f64 v[136:137], v[48:49], s[20:21]
	v_mul_f64 v[48:49], v[48:49], s[18:19]
	v_add_f64 v[67:68], v[140:141], v[67:68]
	v_fma_f64 v[106:107], v[44:45], s[10:11], -v[146:147]
	v_fma_f64 v[140:141], v[44:45], s[10:11], v[146:147]
	v_fma_f64 v[132:133], v[14:15], s[4:5], v[96:97]
	v_add_f64 v[56:57], v[79:80], v[56:57]
	v_add_f64 v[34:35], v[86:87], v[34:35]
	v_fma_f64 v[85:86], v[52:53], s[10:11], v[102:103]
	v_fma_f64 v[102:103], v[52:53], s[10:11], -v[102:103]
	v_add_f64 v[63:64], v[152:153], v[63:64]
	v_fma_f64 v[152:153], v[52:53], s[6:7], v[98:99]
	v_fma_f64 v[146:147], v[44:45], s[6:7], -v[75:76]
	v_fma_f64 v[44:45], v[44:45], s[6:7], v[75:76]
	v_fma_f64 v[52:53], v[52:53], s[6:7], -v[98:99]
	v_fma_f64 v[150:151], v[32:33], s[10:11], v[26:27]
	v_fma_f64 v[79:80], v[128:129], s[6:7], v[118:119]
	v_add_f64 v[59:60], v[94:95], v[59:60]
	v_fma_f64 v[88:89], v[14:15], s[10:11], -v[160:161]
	v_fma_f64 v[26:27], v[32:33], s[10:11], -v[26:27]
	v_mul_f64 v[100:101], v[138:139], s[30:31]
	v_cndmask_b32_e64 v209, v207, v112, s0
	v_fma_f64 v[118:119], v[24:25], s[4:5], -v[136:137]
	v_fma_f64 v[136:137], v[24:25], s[4:5], v[136:137]
	v_add_f64 v[16:17], v[20:21], v[16:17]
	v_add_f64 v[69:70], v[106:107], v[69:70]
	v_fma_f64 v[106:107], v[24:25], s[6:7], v[108:109]
	v_fma_f64 v[108:109], v[46:47], s[6:7], -v[156:157]
	v_add_f64 v[61:62], v[140:141], v[61:62]
	v_mul_f64 v[140:141], v[50:51], s[38:39]
	v_add_f64 v[85:86], v[85:86], v[130:131]
	v_fma_f64 v[130:131], v[46:47], s[4:5], v[144:145]
	v_add_f64 v[102:103], v[102:103], v[110:111]
	v_mul_f64 v[110:111], v[36:37], s[38:39]
	v_fma_f64 v[144:145], v[46:47], s[4:5], -v[144:145]
	v_add_f64 v[116:117], v[146:147], v[116:117]
	v_add_f64 v[92:93], v[152:153], v[92:93]
	;; [unrolled: 1-line block ×3, first 2 shown]
	v_fma_f64 v[71:72], v[24:25], s[14:15], -v[48:49]
	v_add_f64 v[52:53], v[52:53], v[90:91]
	v_fma_f64 v[90:91], v[46:47], s[14:15], v[54:55]
	v_mul_f64 v[50:51], v[50:51], s[42:43]
	v_mul_f64 v[36:37], v[36:37], s[42:43]
	v_fma_f64 v[24:25], v[24:25], s[14:15], v[48:49]
	v_fma_f64 v[46:47], v[46:47], s[14:15], -v[54:55]
	v_add_f64 v[83:84], v[132:133], v[104:105]
	v_mul_f64 v[132:133], v[40:41], s[38:39]
	v_add_f64 v[42:43], v[150:151], v[42:43]
	v_mul_f64 v[150:151], v[38:39], s[38:39]
	v_add_f64 v[56:57], v[106:107], v[56:57]
	v_add_f64 v[59:60], v[108:109], v[59:60]
	v_fma_f64 v[106:107], v[28:29], s[10:11], v[148:149]
	v_add_f64 v[69:70], v[118:119], v[69:70]
	v_add_f64 v[85:86], v[130:131], v[85:86]
	v_fma_f64 v[118:119], v[32:33], s[22:23], v[140:141]
	v_fma_f64 v[108:109], v[28:29], s[22:23], -v[110:111]
	v_mul_f64 v[130:131], v[40:41], s[30:31]
	v_mul_f64 v[148:149], v[38:39], s[30:31]
	v_add_f64 v[61:62], v[136:137], v[61:62]
	v_add_f64 v[102:103], v[144:145], v[102:103]
	v_fma_f64 v[110:111], v[28:29], s[22:23], v[110:111]
	v_fma_f64 v[136:137], v[32:33], s[22:23], -v[140:141]
	v_add_f64 v[71:72], v[71:72], v[116:117]
	v_add_f64 v[90:91], v[90:91], v[92:93]
	v_fma_f64 v[116:117], v[32:33], s[4:5], v[50:51]
	v_mul_f64 v[38:39], v[38:39], s[16:17]
	v_fma_f64 v[92:93], v[28:29], s[4:5], -v[36:37]
	v_mul_f64 v[40:41], v[40:41], s[16:17]
	v_add_f64 v[24:25], v[24:25], v[44:45]
	v_add_f64 v[44:45], v[46:47], v[52:53]
	v_fma_f64 v[28:29], v[28:29], s[4:5], v[36:37]
	v_fma_f64 v[32:33], v[32:33], s[4:5], -v[50:51]
	v_fma_f64 v[94:95], v[30:31], s[22:23], -v[132:133]
	v_mul_f64 v[48:49], v[134:135], s[42:43]
	v_add_f64 v[77:78], v[88:89], v[77:78]
	v_mul_f64 v[88:89], v[134:135], s[18:19]
	v_mul_f64 v[104:105], v[138:139], s[18:19]
	v_fma_f64 v[146:147], v[14:15], s[22:23], v[150:151]
	v_mul_f64 v[54:55], v[138:139], s[42:43]
	v_add_f64 v[36:37], v[106:107], v[56:57]
	v_add_f64 v[26:27], v[26:27], v[59:60]
	v_fma_f64 v[46:47], v[30:31], s[22:23], v[132:133]
	v_fma_f64 v[50:51], v[14:15], s[22:23], -v[150:151]
	v_add_f64 v[52:53], v[108:109], v[69:70]
	v_add_f64 v[56:57], v[118:119], v[85:86]
	v_fma_f64 v[59:60], v[30:31], s[6:7], -v[130:131]
	v_fma_f64 v[69:70], v[14:15], s[6:7], v[148:149]
	v_mul_f64 v[85:86], v[134:135], s[16:17]
	v_mul_f64 v[106:107], v[138:139], s[16:17]
	v_add_f64 v[61:62], v[110:111], v[61:62]
	v_add_f64 v[102:103], v[136:137], v[102:103]
	v_fma_f64 v[108:109], v[30:31], s[6:7], v[130:131]
	v_fma_f64 v[110:111], v[14:15], s[6:7], -v[148:149]
	v_add_f64 v[90:91], v[116:117], v[90:91]
	v_fma_f64 v[116:117], v[14:15], s[12:13], v[38:39]
	v_add_f64 v[71:72], v[92:93], v[71:72]
	v_fma_f64 v[92:93], v[30:31], s[12:13], -v[40:41]
	v_mul_f64 v[118:119], v[134:135], s[28:29]
	v_mul_f64 v[130:131], v[138:139], s[28:29]
	v_add_f64 v[24:25], v[28:29], v[24:25]
	v_add_f64 v[28:29], v[32:33], v[44:45]
	v_fma_f64 v[32:33], v[14:15], s[12:13], -v[38:39]
	v_fma_f64 v[14:15], v[14:15], s[4:5], -v[96:97]
	v_fma_f64 v[30:31], v[30:31], s[12:13], v[40:41]
	v_add_f64 v[34:35], v[94:95], v[34:35]
	v_fma_f64 v[44:45], v[128:129], s[4:5], -v[48:49]
	v_fma_f64 v[75:76], v[142:143], s[6:7], v[100:101]
	v_fma_f64 v[98:99], v[128:129], s[14:15], -v[88:89]
	v_fma_f64 v[38:39], v[142:143], s[14:15], v[104:105]
	v_fma_f64 v[40:41], v[128:129], s[14:15], v[88:89]
	v_add_f64 v[42:43], v[146:147], v[42:43]
	v_fma_f64 v[87:88], v[142:143], s[4:5], v[54:55]
	v_add_f64 v[46:47], v[46:47], v[36:37]
	v_add_f64 v[26:27], v[50:51], v[26:27]
	v_fma_f64 v[48:49], v[128:129], s[4:5], v[48:49]
	v_add_f64 v[50:51], v[59:60], v[52:53]
	v_add_f64 v[52:53], v[69:70], v[56:57]
	v_fma_f64 v[56:57], v[128:129], s[12:13], -v[85:86]
	v_fma_f64 v[59:60], v[142:143], s[12:13], v[106:107]
	v_add_f64 v[61:62], v[108:109], v[61:62]
	v_add_f64 v[69:70], v[110:111], v[102:103]
	v_fma_f64 v[85:86], v[128:129], s[12:13], v[85:86]
	v_fma_f64 v[106:107], v[142:143], s[12:13], -v[106:107]
	v_add_f64 v[89:90], v[116:117], v[90:91]
	v_fma_f64 v[116:117], v[142:143], s[4:5], -v[54:55]
	v_add_f64 v[71:72], v[92:93], v[71:72]
	v_fma_f64 v[91:92], v[128:129], s[10:11], -v[118:119]
	v_fma_f64 v[93:94], v[142:143], s[10:11], v[130:131]
	v_add_f64 v[73:74], v[14:15], v[73:74]
	v_fma_f64 v[104:105], v[142:143], s[14:15], -v[104:105]
	v_add_f64 v[95:96], v[30:31], v[24:25]
	v_add_f64 v[102:103], v[32:33], v[28:29]
	v_fma_f64 v[108:109], v[128:129], s[10:11], v[118:119]
	v_fma_f64 v[110:111], v[142:143], s[10:11], -v[130:131]
	v_fma_f64 v[100:101], v[142:143], s[6:7], -v[100:101]
	v_lshrrev_b32_e32 v54, 1, v114
	v_add_f64 v[36:37], v[44:45], v[34:35]
	v_add_f64 v[14:15], v[75:76], v[63:64]
	;; [unrolled: 1-line block ×4, first 2 shown]
	v_mul_lo_u32 v34, v54, 26
	v_add_f64 v[32:33], v[40:41], v[67:68]
	v_add_f64 v[38:39], v[87:88], v[42:43]
	;; [unrolled: 1-line block ×11, first 2 shown]
	v_or_b32_e32 v56, v34, v191
	v_add_f64 v[34:35], v[104:105], v[73:74]
	v_add_f64 v[24:25], v[79:80], v[65:66]
	;; [unrolled: 1-line block ×5, first 2 shown]
	v_mul_i32_i24_e32 v128, 12, v209
	v_mov_b32_e32 v129, 0
	ds_write_b128 v58, v[0:3] offset:384
	v_lshl_add_u32 v56, v56, 4, 0
	ds_write_b128 v56, v[4:7]
	ds_write_b128 v56, v[8:11] offset:32
	ds_write_b128 v56, v[12:15] offset:64
	ds_write_b128 v56, v[28:31] offset:96
	v_lshlrev_b64 v[0:1], 4, v[128:129]
	ds_write_b128 v56, v[36:39] offset:128
	ds_write_b128 v56, v[44:47] offset:160
	;; [unrolled: 1-line block ×4, first 2 shown]
	v_add_co_u32 v28, s1, s8, v0
	v_add_co_ci_u32_e64 v29, s1, s9, v1, s1
	ds_write_b128 v56, v[59:62] offset:256
	ds_write_b128 v56, v[40:43] offset:288
	;; [unrolled: 1-line block ×5, first 2 shown]
	s_waitcnt lgkmcnt(0)
	s_barrier
	buffer_gl0_inv
	s_clause 0x7
	global_load_dwordx4 v[4:7], v[28:29], off offset:384
	global_load_dwordx4 v[12:15], v[28:29], off offset:400
	;; [unrolled: 1-line block ×8, first 2 shown]
	v_and_b32_e32 v30, 0xff, v114
	s_clause 0x2
	global_load_dwordx4 v[48:51], v[28:29], off offset:512
	global_load_dwordx4 v[40:43], v[28:29], off offset:528
	global_load_dwordx4 v[36:39], v[28:29], off offset:544
	v_cmp_lt_u32_e64 s1, 25, v112
	v_mul_lo_u16 v30, 0x4f, v30
	v_lshrrev_b16 v128, 11, v30
	v_mul_lo_u16 v30, v128, 26
	v_sub_nc_u16 v208, v114, v30
	v_mov_b32_e32 v30, 12
	v_mul_u32_u24_sdwa v30, v208, v30 dst_sel:DWORD dst_unused:UNUSED_PAD src0_sel:BYTE_0 src1_sel:DWORD
	v_lshlrev_b32_e32 v30, 4, v30
	s_clause 0xc
	global_load_dwordx4 v[44:47], v[28:29], off offset:560
	global_load_dwordx4 v[52:55], v30, s[8:9] offset:384
	global_load_dwordx4 v[60:63], v30, s[8:9] offset:400
	;; [unrolled: 1-line block ×12, first 2 shown]
	ds_read_b128 v[28:31], v202
	ds_read_b128 v[104:107], v201
	;; [unrolled: 1-line block ×4, first 2 shown]
	s_waitcnt vmcnt(23) lgkmcnt(3)
	v_mul_f64 v[108:109], v[30:31], v[6:7]
	v_mul_f64 v[6:7], v[28:29], v[6:7]
	s_waitcnt vmcnt(22) lgkmcnt(2)
	v_mul_f64 v[116:117], v[106:107], v[14:15]
	v_mul_f64 v[130:131], v[104:105], v[14:15]
	;; [unrolled: 3-line block ×3, first 2 shown]
	v_fma_f64 v[110:111], v[28:29], v[4:5], -v[108:109]
	v_fma_f64 v[108:109], v[30:31], v[4:5], v[6:7]
	v_fma_f64 v[14:15], v[104:105], v[12:13], -v[116:117]
	v_mul_f64 v[116:117], v[102:103], v[10:11]
	v_fma_f64 v[118:119], v[106:107], v[12:13], v[130:131]
	v_mul_f64 v[130:131], v[100:101], v[10:11]
	ds_read_b128 v[28:31], v198
	ds_read_b128 v[4:7], v205
	;; [unrolled: 1-line block ×3, first 2 shown]
	v_fma_f64 v[154:155], v[134:135], v[0:1], v[2:3]
	v_fma_f64 v[152:153], v[132:133], v[0:1], -v[140:141]
	ds_read_b128 v[0:3], v198 offset:11648
	ds_read_b128 v[10:13], v198 offset:2496
	v_fma_f64 v[116:117], v[100:101], v[8:9], -v[116:117]
	v_fma_f64 v[150:151], v[102:103], v[8:9], v[130:131]
	ds_read_b128 v[100:103], v197
	s_waitcnt lgkmcnt(5)
	v_add_f64 v[138:139], v[30:31], v[108:109]
	v_add_f64 v[136:137], v[28:29], v[110:111]
	s_waitcnt vmcnt(18) lgkmcnt(0)
	v_mul_f64 v[132:133], v[102:103], v[22:23]
	v_mul_f64 v[22:23], v[100:101], v[22:23]
	v_add_f64 v[130:131], v[138:139], v[118:119]
	v_add_f64 v[8:9], v[136:137], v[14:15]
	v_mul_f64 v[136:137], v[106:107], v[18:19]
	v_mul_f64 v[18:19], v[104:105], v[18:19]
	v_fma_f64 v[162:163], v[100:101], v[20:21], -v[132:133]
	v_fma_f64 v[164:165], v[102:103], v[20:21], v[22:23]
	ds_read_b128 v[20:23], v198 offset:12480
	v_add_f64 v[130:131], v[130:131], v[150:151]
	v_add_f64 v[8:9], v[8:9], v[116:117]
	s_waitcnt vmcnt(17)
	v_mul_f64 v[100:101], v[2:3], v[34:35]
	v_fma_f64 v[158:159], v[106:107], v[16:17], v[18:19]
	v_mul_f64 v[34:35], v[0:1], v[34:35]
	v_fma_f64 v[156:157], v[104:105], v[16:17], -v[136:137]
	ds_read_b128 v[16:19], v198 offset:10816
	ds_read_b128 v[104:107], v198 offset:13312
	s_waitcnt vmcnt(11)
	v_mul_f64 v[184:185], v[12:13], v[54:55]
	v_mul_f64 v[54:55], v[10:11], v[54:55]
	v_add_f64 v[130:131], v[130:131], v[154:155]
	v_add_f64 v[8:9], v[8:9], v[152:153]
	v_fma_f64 v[166:167], v[0:1], v[32:33], -v[100:101]
	ds_read_b128 v[100:103], v198 offset:14976
	v_fma_f64 v[168:169], v[2:3], v[32:33], v[34:35]
	s_waitcnt lgkmcnt(1)
	v_mul_f64 v[134:135], v[106:107], v[26:27]
	v_mul_f64 v[26:27], v[104:105], v[26:27]
	v_add_f64 v[130:131], v[130:131], v[158:159]
	v_add_f64 v[8:9], v[8:9], v[156:157]
	s_waitcnt lgkmcnt(0)
	v_mul_f64 v[142:143], v[102:103], v[50:51]
	v_mul_f64 v[50:51], v[100:101], v[50:51]
	v_fma_f64 v[160:161], v[104:105], v[24:25], -v[134:135]
	v_fma_f64 v[170:171], v[106:107], v[24:25], v[26:27]
	v_add_f64 v[136:137], v[130:131], v[164:165]
	ds_read_b128 v[0:3], v198 offset:16640
	ds_read_b128 v[32:35], v198 offset:18304
	ds_read_b128 v[130:133], v198 offset:14144
	ds_read_b128 v[24:27], v198 offset:19968
	ds_read_b128 v[104:107], v198 offset:15808
	v_add_f64 v[8:9], v[8:9], v[162:163]
	v_fma_f64 v[178:179], v[102:103], v[48:49], v[50:51]
	v_fma_f64 v[176:177], v[100:101], v[48:49], -v[142:143]
	ds_read_b128 v[142:145], v198 offset:5824
	ds_read_b128 v[48:51], v198 offset:7488
	;; [unrolled: 1-line block ×4, first 2 shown]
	s_waitcnt lgkmcnt(8)
	v_mul_f64 v[172:173], v[2:3], v[42:43]
	v_mul_f64 v[42:43], v[0:1], v[42:43]
	s_waitcnt lgkmcnt(5)
	v_mul_f64 v[182:183], v[24:25], v[46:47]
	v_add_f64 v[146:147], v[136:137], v[168:169]
	ds_read_b128 v[134:137], v198 offset:4160
	v_mul_f64 v[174:175], v[34:35], v[38:39]
	v_add_f64 v[8:9], v[8:9], v[166:167]
	v_mul_f64 v[38:39], v[32:33], v[38:39]
	v_mul_f64 v[46:47], v[26:27], v[46:47]
	v_fma_f64 v[172:173], v[0:1], v[40:41], -v[172:173]
	v_fma_f64 v[188:189], v[2:3], v[40:41], v[42:43]
	s_waitcnt vmcnt(10) lgkmcnt(0)
	v_mul_f64 v[186:187], v[136:137], v[62:63]
	v_add_f64 v[180:181], v[146:147], v[170:171]
	v_mul_f64 v[62:63], v[134:135], v[62:63]
	v_fma_f64 v[182:183], v[26:27], v[44:45], v[182:183]
	ds_read_b128 v[146:149], v198 offset:9152
	s_waitcnt vmcnt(9)
	v_mul_f64 v[0:1], v[144:145], v[66:67]
	v_add_f64 v[8:9], v[8:9], v[160:161]
	v_mul_f64 v[66:67], v[142:143], v[66:67]
	v_fma_f64 v[174:175], v[32:33], v[36:37], -v[174:175]
	s_waitcnt vmcnt(8)
	v_mul_f64 v[190:191], v[50:51], v[58:59]
	v_fma_f64 v[192:193], v[34:35], v[36:37], v[38:39]
	v_fma_f64 v[194:195], v[24:25], v[44:45], -v[46:47]
	v_mul_f64 v[36:37], v[48:49], v[58:59]
	v_fma_f64 v[42:43], v[10:11], v[52:53], -v[184:185]
	v_fma_f64 v[40:41], v[12:13], v[52:53], v[54:55]
	s_waitcnt vmcnt(6)
	v_mul_f64 v[12:13], v[18:19], v[74:75]
	v_mul_f64 v[44:45], v[16:17], v[74:75]
	s_waitcnt vmcnt(5)
	v_mul_f64 v[46:47], v[22:23], v[78:79]
	v_mul_f64 v[54:55], v[20:21], v[78:79]
	v_fma_f64 v[26:27], v[134:135], v[60:61], -v[186:187]
	v_add_f64 v[180:181], v[180:181], v[178:179]
	s_waitcnt lgkmcnt(0)
	v_mul_f64 v[10:11], v[148:149], v[70:71]
	v_mul_f64 v[38:39], v[146:147], v[70:71]
	v_fma_f64 v[24:25], v[136:137], v[60:61], v[62:63]
	s_waitcnt vmcnt(4)
	v_mul_f64 v[60:61], v[132:133], v[82:83]
	v_mul_f64 v[70:71], v[130:131], v[82:83]
	v_add_f64 v[78:79], v[108:109], -v[182:183]
	s_waitcnt vmcnt(3)
	v_mul_f64 v[82:83], v[106:107], v[86:87]
	v_fma_f64 v[34:35], v[142:143], v[64:65], -v[0:1]
	ds_read_b128 v[0:3], v198 offset:20800
	v_add_f64 v[8:9], v[8:9], v[176:177]
	v_fma_f64 v[32:33], v[144:145], v[64:65], v[66:67]
	v_fma_f64 v[66:67], v[48:49], v[56:57], -v[190:191]
	v_mul_f64 v[86:87], v[104:105], v[86:87]
	v_fma_f64 v[64:65], v[50:51], v[56:57], v[36:37]
	s_waitcnt vmcnt(2)
	v_mul_f64 v[36:37], v[140:141], v[98:99]
	v_add_f64 v[134:135], v[110:111], -v[194:195]
	v_fma_f64 v[48:49], v[16:17], v[72:73], -v[12:13]
	s_waitcnt vmcnt(1)
	v_mul_f64 v[12:13], v[102:103], v[90:91]
	v_fma_f64 v[50:51], v[18:19], v[72:73], v[44:45]
	v_fma_f64 v[52:53], v[20:21], v[76:77], -v[46:47]
	v_fma_f64 v[54:55], v[22:23], v[76:77], v[54:55]
	v_add_f64 v[74:75], v[180:181], v[188:189]
	v_fma_f64 v[58:59], v[146:147], v[68:69], -v[10:11]
	v_mul_f64 v[10:11], v[138:139], v[98:99]
	v_mul_f64 v[16:17], v[100:101], v[90:91]
	v_fma_f64 v[62:63], v[130:131], v[80:81], -v[60:61]
	v_fma_f64 v[60:61], v[132:133], v[80:81], v[70:71]
	v_add_f64 v[76:77], v[110:111], v[194:195]
	s_waitcnt vmcnt(0) lgkmcnt(0)
	v_mul_f64 v[18:19], v[2:3], v[94:95]
	v_mul_f64 v[80:81], v[78:79], s[34:35]
	v_fma_f64 v[56:57], v[148:149], v[68:69], v[38:39]
	v_add_f64 v[8:9], v[8:9], v[172:173]
	v_mul_f64 v[20:21], v[0:1], v[94:95]
	v_mul_f64 v[98:99], v[78:79], s[16:17]
	v_fma_f64 v[70:71], v[106:107], v[84:85], v[86:87]
	v_add_f64 v[86:87], v[108:109], v[182:183]
	v_fma_f64 v[38:39], v[138:139], v[96:97], -v[36:37]
	v_mul_f64 v[94:95], v[134:135], s[34:35]
	v_add_f64 v[106:107], v[14:15], -v[174:175]
	v_fma_f64 v[44:45], v[100:101], v[88:89], -v[12:13]
	v_mul_f64 v[12:13], v[134:135], s[20:21]
	v_add_f64 v[90:91], v[14:15], v[174:175]
	v_add_f64 v[110:111], v[150:151], -v[188:189]
	v_add_f64 v[22:23], v[74:75], v[192:193]
	v_fma_f64 v[74:75], v[104:105], v[84:85], -v[82:83]
	v_add_f64 v[104:105], v[118:119], -v[192:193]
	v_mul_f64 v[82:83], v[78:79], s[20:21]
	v_fma_f64 v[36:37], v[140:141], v[96:97], v[10:11]
	v_mul_f64 v[96:97], v[78:79], s[18:19]
	v_fma_f64 v[46:47], v[102:103], v[88:89], v[16:17]
	v_fma_f64 v[68:69], v[0:1], v[92:93], -v[18:19]
	v_mul_f64 v[0:1], v[134:135], s[24:25]
	v_fma_f64 v[18:19], v[76:77], s[6:7], -v[80:81]
	v_add_f64 v[8:9], v[8:9], v[174:175]
	v_mul_f64 v[84:85], v[78:79], s[24:25]
	v_mul_f64 v[16:17], v[78:79], s[26:27]
	v_fma_f64 v[72:73], v[2:3], v[92:93], v[20:21]
	v_mul_f64 v[2:3], v[134:135], s[16:17]
	v_fma_f64 v[20:21], v[76:77], s[6:7], v[80:81]
	v_fma_f64 v[92:93], v[86:87], s[6:7], v[94:95]
	v_add_f64 v[88:89], v[118:119], v[192:193]
	v_mul_f64 v[118:119], v[106:107], s[20:21]
	v_fma_f64 v[14:15], v[86:87], s[6:7], -v[94:95]
	v_fma_f64 v[136:137], v[76:77], s[12:13], v[98:99]
	v_add_f64 v[108:109], v[116:117], -v[172:173]
	v_add_f64 v[10:11], v[22:23], v[182:183]
	v_mul_f64 v[22:23], v[134:135], s[18:19]
	v_mul_f64 v[102:103], v[104:105], s[20:21]
	v_fma_f64 v[78:79], v[76:77], s[4:5], -v[82:83]
	v_fma_f64 v[80:81], v[76:77], s[4:5], v[82:83]
	v_mul_f64 v[82:83], v[134:135], s[26:27]
	v_fma_f64 v[134:135], v[76:77], s[12:13], -v[98:99]
	v_fma_f64 v[94:95], v[86:87], s[4:5], v[12:13]
	v_fma_f64 v[138:139], v[76:77], s[14:15], -v[96:97]
	v_fma_f64 v[12:13], v[86:87], s[4:5], -v[12:13]
	v_fma_f64 v[140:141], v[76:77], s[14:15], v[96:97]
	v_fma_f64 v[98:99], v[86:87], s[10:11], v[0:1]
	v_fma_f64 v[0:1], v[86:87], s[10:11], -v[0:1]
	v_add_f64 v[18:19], v[28:29], v[18:19]
	v_mul_f64 v[182:183], v[104:105], s[16:17]
	v_add_f64 v[96:97], v[116:117], v[172:173]
	v_mul_f64 v[116:117], v[110:111], s[24:25]
	v_add_f64 v[132:133], v[154:155], -v[178:179]
	v_add_f64 v[8:9], v[8:9], v[194:195]
	v_fma_f64 v[100:101], v[76:77], s[10:11], -v[84:85]
	v_fma_f64 v[84:85], v[76:77], s[10:11], v[84:85]
	v_fma_f64 v[148:149], v[76:77], s[22:23], -v[16:17]
	v_fma_f64 v[16:17], v[76:77], s[22:23], v[16:17]
	v_fma_f64 v[142:143], v[86:87], s[14:15], v[22:23]
	v_fma_f64 v[174:175], v[86:87], s[14:15], -v[22:23]
	v_fma_f64 v[22:23], v[90:91], s[4:5], -v[102:103]
	v_fma_f64 v[76:77], v[86:87], s[12:13], v[2:3]
	v_fma_f64 v[2:3], v[86:87], s[12:13], -v[2:3]
	v_fma_f64 v[180:181], v[86:87], s[22:23], v[82:83]
	v_add_f64 v[144:145], v[30:31], v[92:93]
	v_fma_f64 v[146:147], v[88:89], s[4:5], v[118:119]
	v_add_f64 v[92:93], v[150:151], v[188:189]
	v_mul_f64 v[172:173], v[108:109], s[24:25]
	v_fma_f64 v[184:185], v[86:87], s[22:23], -v[82:83]
	v_add_f64 v[20:21], v[28:29], v[20:21]
	v_add_f64 v[130:131], v[152:153], -v[176:177]
	v_add_f64 v[78:79], v[28:29], v[78:79]
	v_add_f64 v[188:189], v[28:29], v[80:81]
	;; [unrolled: 1-line block ×4, first 2 shown]
	v_fma_f64 v[80:81], v[90:91], s[4:5], v[102:103]
	v_add_f64 v[12:13], v[30:31], v[0:1]
	v_fma_f64 v[86:87], v[90:91], s[12:13], -v[182:183]
	v_mul_f64 v[196:197], v[110:111], s[26:27]
	v_fma_f64 v[199:200], v[96:97], s[10:11], -v[116:117]
	v_add_f64 v[98:99], v[152:153], v[176:177]
	v_mul_f64 v[152:153], v[132:133], s[16:17]
	v_add_f64 v[0:1], v[22:23], v[18:19]
	v_fma_f64 v[18:19], v[88:89], s[4:5], -v[118:119]
	v_mul_f64 v[118:119], v[106:107], s[16:17]
	v_add_f64 v[82:83], v[30:31], v[14:15]
	v_add_f64 v[186:187], v[30:31], v[94:95]
	;; [unrolled: 1-line block ×5, first 2 shown]
	v_fma_f64 v[203:204], v[92:93], s[10:11], v[172:173]
	v_add_f64 v[94:95], v[154:155], v[178:179]
	v_mul_f64 v[154:155], v[130:131], s[16:17]
	v_add_f64 v[22:23], v[28:29], v[134:135]
	v_add_f64 v[150:151], v[30:31], v[76:77]
	v_add_f64 v[102:103], v[158:159], -v[170:171]
	v_add_f64 v[100:101], v[156:157], -v[160:161]
	v_add_f64 v[134:135], v[30:31], v[2:3]
	v_add_f64 v[2:3], v[80:81], v[20:21]
	v_fma_f64 v[20:21], v[96:97], s[10:11], v[116:117]
	v_fma_f64 v[76:77], v[92:93], s[10:11], -v[172:173]
	v_add_f64 v[78:79], v[86:87], v[78:79]
	v_fma_f64 v[172:173], v[96:97], s[22:23], -v[196:197]
	v_mul_f64 v[176:177], v[108:109], s[26:27]
	v_mul_f64 v[178:179], v[132:133], s[36:37]
	v_add_f64 v[0:1], v[199:200], v[0:1]
	v_fma_f64 v[116:117], v[88:89], s[12:13], v[118:119]
	v_fma_f64 v[199:200], v[98:99], s[12:13], -v[152:153]
	v_add_f64 v[144:145], v[28:29], v[138:139]
	v_add_f64 v[146:147], v[30:31], v[142:143]
	;; [unrolled: 1-line block ×6, first 2 shown]
	v_fma_f64 v[210:211], v[94:95], s[12:13], v[154:155]
	v_add_f64 v[82:83], v[156:157], v[160:161]
	v_mul_f64 v[212:213], v[104:105], s[26:27]
	v_mul_f64 v[156:157], v[102:103], s[18:19]
	;; [unrolled: 1-line block ×3, first 2 shown]
	v_add_f64 v[140:141], v[30:31], v[174:175]
	v_add_f64 v[138:139], v[28:29], v[148:149]
	v_add_f64 v[86:87], v[164:165], -v[168:169]
	v_add_f64 v[84:85], v[162:163], -v[166:167]
	v_add_f64 v[2:3], v[20:21], v[2:3]
	v_fma_f64 v[20:21], v[98:99], s[12:13], v[152:153]
	v_mul_f64 v[174:175], v[106:107], s[26:27]
	v_fma_f64 v[148:149], v[94:95], s[12:13], -v[154:155]
	v_add_f64 v[152:153], v[172:173], v[78:79]
	v_add_f64 v[116:117], v[116:117], v[186:187]
	v_fma_f64 v[154:155], v[92:93], s[22:23], v[176:177]
	v_fma_f64 v[170:171], v[98:99], s[14:15], -v[178:179]
	v_mul_f64 v[172:173], v[130:131], s[36:37]
	v_add_f64 v[0:1], v[199:200], v[0:1]
	v_fma_f64 v[182:183], v[90:91], s[12:13], v[182:183]
	v_mul_f64 v[199:200], v[102:103], s[28:29]
	v_fma_f64 v[118:119], v[88:89], s[12:13], -v[118:119]
	v_add_f64 v[18:19], v[76:77], v[18:19]
	v_add_f64 v[186:187], v[210:211], v[203:204]
	v_fma_f64 v[214:215], v[90:91], s[22:23], -v[212:213]
	v_fma_f64 v[203:204], v[82:83], s[14:15], -v[156:157]
	v_fma_f64 v[210:211], v[80:81], s[14:15], v[158:159]
	v_mul_f64 v[160:161], v[110:111], s[40:41]
	v_add_f64 v[76:77], v[164:165], v[168:169]
	v_add_f64 v[78:79], v[162:163], v[166:167]
	v_mul_f64 v[162:163], v[86:87], s[26:27]
	v_mul_f64 v[164:165], v[84:85], s[26:27]
	v_add_f64 v[2:3], v[20:21], v[2:3]
	v_fma_f64 v[20:21], v[88:89], s[22:23], v[174:175]
	v_mul_f64 v[166:167], v[108:109], s[40:41]
	v_mul_f64 v[218:219], v[100:101], s[28:29]
	v_fma_f64 v[176:177], v[92:93], s[22:23], -v[176:177]
	v_add_f64 v[116:117], v[154:155], v[116:117]
	v_add_f64 v[152:153], v[170:171], v[152:153]
	v_fma_f64 v[154:155], v[94:95], s[14:15], v[172:173]
	v_fma_f64 v[156:157], v[82:83], s[14:15], v[156:157]
	v_add_f64 v[182:183], v[182:183], v[188:189]
	v_fma_f64 v[188:189], v[96:97], s[22:23], v[196:197]
	v_fma_f64 v[196:197], v[82:83], s[10:11], -v[199:200]
	v_add_f64 v[118:119], v[118:119], v[190:191]
	v_add_f64 v[18:19], v[148:149], v[18:19]
	v_fma_f64 v[216:217], v[80:81], s[14:15], -v[158:159]
	v_add_f64 v[190:191], v[214:215], v[192:193]
	v_mul_f64 v[158:159], v[132:133], s[30:31]
	v_fma_f64 v[192:193], v[96:97], s[12:13], -v[160:161]
	v_add_f64 v[148:149], v[30:31], v[180:181]
	v_add_f64 v[0:1], v[203:204], v[0:1]
	;; [unrolled: 1-line block ×3, first 2 shown]
	v_fma_f64 v[186:187], v[78:79], s[22:23], -v[162:163]
	v_mul_f64 v[168:169], v[130:131], s[30:31]
	v_add_f64 v[20:21], v[20:21], v[194:195]
	v_fma_f64 v[194:195], v[92:93], s[12:13], v[166:167]
	v_fma_f64 v[203:204], v[76:77], s[22:23], v[164:165]
	v_fma_f64 v[220:221], v[80:81], s[10:11], v[218:219]
	v_add_f64 v[136:137], v[28:29], v[136:137]
	v_mul_f64 v[170:171], v[86:87], s[30:31]
	v_add_f64 v[116:117], v[154:155], v[116:117]
	v_add_f64 v[2:3], v[156:157], v[2:3]
	v_fma_f64 v[214:215], v[78:79], s[22:23], v[162:163]
	v_add_f64 v[182:183], v[188:189], v[182:183]
	v_fma_f64 v[188:189], v[98:99], s[14:15], v[178:179]
	v_add_f64 v[222:223], v[196:197], v[152:153]
	v_add_f64 v[118:119], v[176:177], v[118:119]
	v_fma_f64 v[196:197], v[94:95], s[14:15], -v[172:173]
	v_add_f64 v[210:211], v[216:217], v[18:19]
	v_fma_f64 v[216:217], v[76:77], s[22:23], -v[164:165]
	;; [unrolled: 2-line block ×3, first 2 shown]
	v_mul_f64 v[156:157], v[104:105], s[36:37]
	v_mul_f64 v[154:155], v[106:107], s[36:37]
	v_add_f64 v[152:153], v[28:29], v[16:17]
	v_add_f64 v[28:29], v[30:31], v[184:185]
	;; [unrolled: 1-line block ×4, first 2 shown]
	v_fma_f64 v[192:193], v[94:95], s[6:7], v[168:169]
	v_mul_f64 v[164:165], v[100:101], s[20:21]
	v_add_f64 v[18:19], v[203:204], v[180:181]
	v_fma_f64 v[184:185], v[90:91], s[22:23], v[212:213]
	v_add_f64 v[172:173], v[220:221], v[116:117]
	v_mul_f64 v[176:177], v[84:85], s[30:31]
	v_fma_f64 v[194:195], v[82:83], s[10:11], v[199:200]
	v_fma_f64 v[186:187], v[88:89], s[22:23], -v[174:175]
	v_add_f64 v[180:181], v[188:189], v[182:183]
	v_add_f64 v[116:117], v[4:5], v[42:43]
	;; [unrolled: 1-line block ×4, first 2 shown]
	v_fma_f64 v[196:197], v[80:81], s[10:11], -v[218:219]
	v_fma_f64 v[224:225], v[78:79], s[6:7], -v[170:171]
	v_add_f64 v[0:1], v[214:215], v[2:3]
	v_add_f64 v[2:3], v[216:217], v[210:211]
	;; [unrolled: 1-line block ×3, first 2 shown]
	v_fma_f64 v[188:189], v[90:91], s[14:15], -v[156:157]
	v_fma_f64 v[190:191], v[88:89], s[14:15], v[154:155]
	v_mul_f64 v[30:31], v[110:111], s[30:31]
	v_mul_f64 v[118:119], v[108:109], s[30:31]
	;; [unrolled: 1-line block ×3, first 2 shown]
	v_add_f64 v[178:179], v[192:193], v[178:179]
	v_fma_f64 v[203:204], v[80:81], s[4:5], v[164:165]
	v_fma_f64 v[160:161], v[96:97], s[12:13], v[160:161]
	v_add_f64 v[14:15], v[184:185], v[14:15]
	v_mul_f64 v[184:185], v[104:105], s[28:29]
	v_mul_f64 v[214:215], v[106:107], s[28:29]
	v_fma_f64 v[216:217], v[76:77], s[6:7], v[176:177]
	v_add_f64 v[12:13], v[186:187], v[12:13]
	v_add_f64 v[180:181], v[194:195], v[180:181]
	v_fma_f64 v[166:167], v[92:93], s[12:13], -v[166:167]
	v_fma_f64 v[170:171], v[78:79], s[6:7], v[170:171]
	v_fma_f64 v[176:177], v[76:77], s[6:7], -v[176:177]
	v_add_f64 v[182:183], v[196:197], v[182:183]
	v_add_f64 v[116:117], v[116:117], v[26:27]
	;; [unrolled: 1-line block ×4, first 2 shown]
	v_mul_f64 v[196:197], v[132:133], s[24:25]
	v_add_f64 v[186:187], v[188:189], v[22:23]
	v_add_f64 v[150:151], v[190:191], v[150:151]
	v_fma_f64 v[188:189], v[96:97], s[6:7], -v[30:31]
	v_fma_f64 v[190:191], v[92:93], s[6:7], v[118:119]
	v_mul_f64 v[199:200], v[130:131], s[24:25]
	v_mul_f64 v[222:223], v[110:111], s[20:21]
	v_add_f64 v[178:179], v[203:204], v[178:179]
	v_fma_f64 v[203:204], v[76:77], s[14:15], v[212:213]
	v_add_f64 v[160:161], v[160:161], v[14:15]
	v_fma_f64 v[218:219], v[90:91], s[10:11], -v[184:185]
	v_fma_f64 v[220:221], v[88:89], s[10:11], v[214:215]
	v_mul_f64 v[224:225], v[108:109], s[20:21]
	v_fma_f64 v[158:159], v[98:99], s[6:7], v[158:159]
	v_fma_f64 v[168:169], v[94:95], s[6:7], -v[168:169]
	v_add_f64 v[166:167], v[166:167], v[12:13]
	v_add_f64 v[12:13], v[170:171], v[180:181]
	v_fma_f64 v[170:171], v[90:91], s[10:11], v[184:185]
	v_add_f64 v[14:15], v[176:177], v[182:183]
	v_add_f64 v[116:117], v[116:117], v[34:35]
	;; [unrolled: 1-line block ×3, first 2 shown]
	v_mul_f64 v[162:163], v[102:103], s[20:21]
	v_add_f64 v[22:23], v[216:217], v[172:173]
	v_fma_f64 v[180:181], v[98:99], s[10:11], -v[196:197]
	v_mul_f64 v[184:185], v[104:105], s[30:31]
	v_add_f64 v[172:173], v[188:189], v[186:187]
	v_add_f64 v[150:151], v[190:191], v[150:151]
	v_fma_f64 v[182:183], v[94:95], s[10:11], v[199:200]
	v_mul_f64 v[186:187], v[106:107], s[30:31]
	v_fma_f64 v[190:191], v[96:97], s[4:5], v[222:223]
	v_add_f64 v[106:107], v[203:204], v[178:179]
	v_fma_f64 v[178:179], v[96:97], s[4:5], -v[222:223]
	v_add_f64 v[144:145], v[218:219], v[144:145]
	v_add_f64 v[146:147], v[220:221], v[146:147]
	v_fma_f64 v[188:189], v[92:93], s[4:5], v[224:225]
	v_add_f64 v[158:159], v[158:159], v[160:161]
	v_mul_f64 v[160:161], v[132:133], s[38:39]
	v_add_f64 v[166:167], v[168:169], v[166:167]
	v_mul_f64 v[168:169], v[130:131], s[38:39]
	v_add_f64 v[142:143], v[170:171], v[142:143]
	v_fma_f64 v[170:171], v[88:89], s[10:11], -v[214:215]
	v_add_f64 v[116:117], v[116:117], v[66:67]
	v_add_f64 v[176:177], v[176:177], v[64:65]
	v_fma_f64 v[192:193], v[82:83], s[4:5], -v[162:163]
	v_mul_f64 v[210:211], v[86:87], s[18:19]
	v_mul_f64 v[110:111], v[110:111], s[18:19]
	;; [unrolled: 1-line block ×3, first 2 shown]
	v_add_f64 v[172:173], v[180:181], v[172:173]
	v_fma_f64 v[180:181], v[90:91], s[6:7], -v[184:185]
	v_add_f64 v[150:151], v[182:183], v[150:151]
	v_fma_f64 v[182:183], v[88:89], s[6:7], v[186:187]
	v_fma_f64 v[184:185], v[90:91], s[6:7], v[184:185]
	;; [unrolled: 1-line block ×3, first 2 shown]
	v_mul_f64 v[194:195], v[100:101], s[38:39]
	v_add_f64 v[144:145], v[178:179], v[144:145]
	v_fma_f64 v[178:179], v[88:89], s[6:7], -v[186:187]
	v_add_f64 v[146:147], v[188:189], v[146:147]
	v_mul_f64 v[188:189], v[102:103], s[30:31]
	v_fma_f64 v[186:187], v[98:99], s[22:23], -v[160:161]
	v_fma_f64 v[88:89], v[88:89], s[14:15], -v[154:155]
	v_fma_f64 v[156:157], v[94:95], s[22:23], v[168:169]
	v_add_f64 v[142:143], v[190:191], v[142:143]
	v_add_f64 v[140:141], v[170:171], v[140:141]
	;; [unrolled: 1-line block ×4, first 2 shown]
	v_fma_f64 v[176:177], v[92:93], s[4:5], -v[224:225]
	v_fma_f64 v[160:161], v[98:99], s[22:23], v[160:161]
	v_add_f64 v[174:175], v[192:193], v[174:175]
	v_fma_f64 v[192:193], v[78:79], s[14:15], -v[210:211]
	v_mul_f64 v[154:155], v[100:101], s[30:31]
	v_add_f64 v[138:139], v[180:181], v[138:139]
	v_fma_f64 v[180:181], v[96:97], s[14:15], -v[110:111]
	v_add_f64 v[148:149], v[182:183], v[148:149]
	v_fma_f64 v[182:183], v[92:93], s[14:15], v[108:109]
	v_mul_f64 v[132:133], v[132:133], s[42:43]
	v_add_f64 v[152:153], v[184:185], v[152:153]
	v_mul_f64 v[130:131], v[130:131], s[42:43]
	v_fma_f64 v[110:111], v[96:97], s[14:15], v[110:111]
	v_add_f64 v[28:29], v[178:179], v[28:29]
	v_fma_f64 v[108:109], v[92:93], s[14:15], -v[108:109]
	v_add_f64 v[90:91], v[90:91], v[136:137]
	v_fma_f64 v[30:31], v[96:97], s[6:7], v[30:31]
	v_add_f64 v[96:97], v[186:187], v[144:145]
	v_add_f64 v[88:89], v[88:89], v[134:135]
	v_fma_f64 v[92:93], v[92:93], s[6:7], -v[118:119]
	v_add_f64 v[118:119], v[156:157], v[146:147]
	v_add_f64 v[116:117], v[116:117], v[48:49]
	v_fma_f64 v[134:135], v[82:83], s[6:7], -v[188:189]
	v_add_f64 v[136:137], v[170:171], v[50:51]
	v_add_f64 v[140:141], v[176:177], v[140:141]
	;; [unrolled: 1-line block ×3, first 2 shown]
	v_fma_f64 v[146:147], v[94:95], s[22:23], -v[168:169]
	v_fma_f64 v[156:157], v[82:83], s[6:7], v[188:189]
	v_add_f64 v[104:105], v[192:193], v[174:175]
	v_mul_f64 v[174:175], v[102:103], s[38:39]
	v_fma_f64 v[162:163], v[82:83], s[4:5], v[162:163]
	v_fma_f64 v[164:165], v[80:81], s[4:5], -v[164:165]
	v_fma_f64 v[184:185], v[80:81], s[22:23], v[194:195]
	v_fma_f64 v[144:145], v[80:81], s[6:7], v[154:155]
	v_add_f64 v[148:149], v[182:183], v[148:149]
	v_fma_f64 v[160:161], v[98:99], s[4:5], -v[132:133]
	v_fma_f64 v[168:169], v[94:95], s[4:5], v[130:131]
	v_add_f64 v[110:111], v[110:111], v[152:153]
	v_fma_f64 v[132:133], v[98:99], s[4:5], v[132:133]
	v_add_f64 v[28:29], v[108:109], v[28:29]
	v_fma_f64 v[108:109], v[94:95], s[4:5], -v[130:131]
	v_add_f64 v[88:89], v[92:93], v[88:89]
	v_mul_f64 v[92:93], v[102:103], s[16:17]
	v_add_f64 v[102:103], v[116:117], v[52:53]
	v_fma_f64 v[94:95], v[94:95], s[10:11], -v[199:200]
	v_add_f64 v[116:117], v[136:137], v[54:55]
	v_mul_f64 v[100:101], v[100:101], s[16:17]
	v_add_f64 v[134:135], v[134:135], v[96:97]
	v_add_f64 v[96:97], v[146:147], v[140:141]
	;; [unrolled: 1-line block ×3, first 2 shown]
	v_add_f64 v[142:143], v[40:41], -v[72:73]
	v_fma_f64 v[192:193], v[82:83], s[22:23], -v[174:175]
	v_add_f64 v[138:139], v[180:181], v[138:139]
	v_add_f64 v[152:153], v[162:163], v[158:159]
	;; [unrolled: 1-line block ×3, first 2 shown]
	v_fma_f64 v[90:91], v[98:99], s[10:11], v[196:197]
	v_add_f64 v[98:99], v[164:165], v[166:167]
	v_add_f64 v[136:137], v[184:185], v[150:151]
	;; [unrolled: 1-line block ×5, first 2 shown]
	v_mul_f64 v[132:133], v[86:87], s[42:43]
	v_add_f64 v[146:147], v[42:43], -v[68:69]
	v_add_f64 v[28:29], v[108:109], v[28:29]
	v_mul_f64 v[108:109], v[84:85], s[42:43]
	v_fma_f64 v[148:149], v[80:81], s[6:7], -v[154:155]
	v_mul_f64 v[150:151], v[86:87], s[16:17]
	v_fma_f64 v[154:155], v[82:83], s[12:13], -v[92:93]
	v_add_f64 v[102:103], v[102:103], v[62:63]
	v_add_f64 v[94:95], v[94:95], v[88:89]
	;; [unrolled: 1-line block ×3, first 2 shown]
	v_fma_f64 v[116:117], v[80:81], s[12:13], v[100:101]
	v_fma_f64 v[92:93], v[82:83], s[12:13], v[92:93]
	v_fma_f64 v[156:157], v[82:83], s[22:23], v[174:175]
	v_mul_f64 v[82:83], v[84:85], s[16:17]
	v_add_f64 v[162:163], v[42:43], v[68:69]
	v_mul_f64 v[164:165], v[142:143], s[34:35]
	v_mul_f64 v[42:43], v[84:85], s[28:29]
	v_add_f64 v[84:85], v[24:25], -v[46:47]
	v_add_f64 v[130:131], v[192:193], v[172:173]
	v_add_f64 v[138:139], v[160:161], v[138:139]
	;; [unrolled: 1-line block ×3, first 2 shown]
	v_fma_f64 v[100:101], v[80:81], s[12:13], -v[100:101]
	v_fma_f64 v[158:159], v[80:81], s[22:23], -v[194:195]
	v_mul_f64 v[160:161], v[86:87], s[28:29]
	v_add_f64 v[166:167], v[40:41], v[72:73]
	v_mul_f64 v[168:169], v[146:147], s[34:35]
	v_fma_f64 v[40:41], v[78:79], s[14:15], v[210:211]
	v_add_f64 v[90:91], v[26:27], -v[44:45]
	v_fma_f64 v[170:171], v[76:77], s[14:15], -v[212:213]
	v_add_f64 v[148:149], v[148:149], v[96:97]
	v_fma_f64 v[96:97], v[78:79], s[4:5], -v[132:133]
	v_add_f64 v[102:103], v[102:103], v[74:75]
	v_add_f64 v[172:173], v[88:89], v[70:71]
	;; [unrolled: 1-line block ×3, first 2 shown]
	v_fma_f64 v[144:145], v[78:79], s[12:13], -v[150:151]
	v_add_f64 v[110:111], v[92:93], v[110:111]
	v_fma_f64 v[92:93], v[76:77], s[12:13], v[82:83]
	v_fma_f64 v[174:175], v[76:77], s[12:13], -v[82:83]
	v_fma_f64 v[180:181], v[162:163], s[6:7], -v[164:165]
	v_add_f64 v[80:81], v[26:27], v[44:45]
	v_mul_f64 v[182:183], v[84:85], s[20:21]
	v_add_f64 v[82:83], v[32:33], -v[36:37]
	v_add_f64 v[138:139], v[154:155], v[138:139]
	v_fma_f64 v[154:155], v[76:77], s[4:5], v[108:109]
	v_add_f64 v[176:177], v[100:101], v[28:29]
	v_fma_f64 v[178:179], v[78:79], s[10:11], -v[160:161]
	v_add_f64 v[86:87], v[24:25], v[46:47]
	v_fma_f64 v[184:185], v[166:167], s[6:7], v[168:169]
	v_add_f64 v[156:157], v[156:157], v[30:31]
	v_mul_f64 v[186:187], v[90:91], s[20:21]
	v_fma_f64 v[188:189], v[76:77], s[10:11], v[42:43]
	v_add_f64 v[88:89], v[34:35], -v[38:39]
	v_add_f64 v[158:159], v[158:159], v[94:95]
	v_fma_f64 v[160:161], v[78:79], s[10:11], v[160:161]
	v_fma_f64 v[42:43], v[76:77], s[10:11], -v[42:43]
	v_add_f64 v[24:25], v[40:41], v[152:153]
	v_add_f64 v[101:102], v[102:103], v[38:39]
	;; [unrolled: 1-line block ×3, first 2 shown]
	v_fma_f64 v[108:109], v[76:77], s[4:5], -v[108:109]
	v_add_f64 v[26:27], v[170:171], v[98:99]
	v_add_f64 v[97:98], v[96:97], v[130:131]
	;; [unrolled: 1-line block ×5, first 2 shown]
	v_fma_f64 v[130:131], v[80:81], s[4:5], -v[182:183]
	v_add_f64 v[76:77], v[34:35], v[38:39]
	v_mul_f64 v[134:135], v[82:83], s[24:25]
	v_add_f64 v[92:93], v[64:65], -v[70:71]
	v_fma_f64 v[150:151], v[78:79], s[12:13], v[150:151]
	v_fma_f64 v[132:133], v[78:79], s[4:5], v[132:133]
	v_add_f64 v[99:100], v[154:155], v[136:137]
	v_add_f64 v[136:137], v[6:7], v[184:185]
	v_fma_f64 v[144:145], v[86:87], s[4:5], v[186:187]
	v_add_f64 v[78:79], v[32:33], v[36:37]
	v_mul_f64 v[154:155], v[88:89], s[24:25]
	v_add_f64 v[94:95], v[66:67], -v[74:75]
	v_add_f64 v[38:39], v[188:189], v[116:117]
	v_add_f64 v[40:41], v[160:161], v[110:111]
	v_add_f64 v[101:102], v[101:102], v[44:45]
	v_add_f64 v[110:111], v[152:153], v[46:47]
	v_add_f64 v[46:47], v[108:109], v[158:159]
	v_add_f64 v[66:67], v[66:67], v[74:75]
	v_add_f64 v[74:75], v[56:57], -v[60:61]
	v_lshlrev_b32_e32 v96, 4, v209
	v_cndmask_b32_e64 v103, 0, 0x1520, s1
	v_add_f64 v[108:109], v[130:131], v[118:119]
	v_add_f64 v[64:65], v[64:65], v[70:71]
	v_fma_f64 v[116:117], v[76:77], s[10:11], -v[134:135]
	v_mul_f64 v[130:131], v[92:93], s[16:17]
	v_add3_u32 v96, 0, v103, v96
	v_add_f64 v[32:33], v[150:151], v[140:141]
	v_add_f64 v[44:45], v[132:133], v[156:157]
	v_add_f64 v[70:71], v[58:59], -v[62:63]
	v_add_f64 v[118:119], v[144:145], v[136:137]
	s_barrier
	v_fma_f64 v[132:133], v[78:79], s[10:11], v[154:155]
	v_mul_f64 v[136:137], v[94:95], s[16:17]
	buffer_gl0_inv
	v_fma_f64 v[140:141], v[162:163], s[6:7], v[164:165]
	ds_write_b128 v96, v[8:11]
	ds_write_b128 v96, v[16:19] offset:416
	ds_write_b128 v96, v[20:23] offset:832
	;; [unrolled: 1-line block ×4, first 2 shown]
	v_add_f64 v[16:17], v[101:102], v[68:69]
	v_add_f64 v[18:19], v[110:111], v[72:73]
	v_fma_f64 v[68:69], v[166:167], s[6:7], -v[168:169]
	v_add_f64 v[10:11], v[58:59], v[62:63]
	v_mul_f64 v[58:59], v[74:75], s[18:19]
	v_add_f64 v[36:37], v[178:179], v[138:139]
	v_mul_f64 v[138:139], v[142:143], s[20:21]
	v_mul_f64 v[144:145], v[142:143], s[24:25]
	;; [unrolled: 1-line block ×3, first 2 shown]
	v_add_f64 v[72:73], v[116:117], v[108:109]
	v_fma_f64 v[97:98], v[66:67], s[12:13], -v[130:131]
	v_mul_f64 v[22:23], v[142:143], s[18:19]
	v_add_f64 v[8:9], v[56:57], v[60:61]
	v_mul_f64 v[60:61], v[142:143], s[26:27]
	v_mul_f64 v[56:57], v[70:71], s[18:19]
	v_fma_f64 v[105:106], v[80:81], s[4:5], v[182:183]
	v_mul_f64 v[109:110], v[146:147], s[20:21]
	v_add_f64 v[62:63], v[132:133], v[118:119]
	v_fma_f64 v[99:100], v[64:65], s[12:13], v[136:137]
	v_mul_f64 v[118:119], v[146:147], s[24:25]
	v_add_f64 v[103:104], v[4:5], v[140:141]
	v_fma_f64 v[152:153], v[86:87], s[4:5], -v[186:187]
	v_add_f64 v[34:35], v[174:175], v[148:149]
	v_mul_f64 v[140:141], v[146:147], s[18:19]
	v_add_f64 v[68:69], v[6:7], v[68:69]
	v_mul_f64 v[142:143], v[146:147], s[26:27]
	v_mul_f64 v[170:171], v[90:91], s[16:17]
	v_add_f64 v[42:43], v[42:43], v[176:177]
	v_fma_f64 v[101:102], v[162:163], s[4:5], -v[138:139]
	v_fma_f64 v[107:108], v[162:163], s[4:5], v[138:139]
	v_fma_f64 v[116:117], v[162:163], s[10:11], -v[144:145]
	v_fma_f64 v[132:133], v[162:163], s[10:11], v[144:145]
	v_add_f64 v[72:73], v[97:98], v[72:73]
	v_fma_f64 v[97:98], v[10:11], s[14:15], -v[58:59]
	v_mul_f64 v[138:139], v[146:147], s[16:17]
	v_fma_f64 v[144:145], v[162:163], s[12:13], -v[20:21]
	v_fma_f64 v[146:147], v[162:163], s[12:13], v[20:21]
	v_fma_f64 v[148:149], v[162:163], s[14:15], -v[22:23]
	v_fma_f64 v[150:151], v[162:163], s[14:15], v[22:23]
	v_fma_f64 v[156:157], v[162:163], s[22:23], -v[60:61]
	v_add_f64 v[62:63], v[99:100], v[62:63]
	v_fma_f64 v[99:100], v[8:9], s[14:15], v[56:57]
	v_fma_f64 v[60:61], v[162:163], s[22:23], v[60:61]
	v_add_f64 v[20:21], v[50:51], -v[54:55]
	v_add_f64 v[103:104], v[105:106], v[103:104]
	v_fma_f64 v[105:106], v[76:77], s[10:11], v[134:135]
	v_fma_f64 v[134:135], v[166:167], s[4:5], v[109:110]
	v_add_f64 v[22:23], v[48:49], -v[52:53]
	v_fma_f64 v[158:159], v[166:167], s[10:11], v[118:119]
	v_mul_f64 v[162:163], v[84:85], s[16:17]
	v_add_f64 v[68:69], v[152:153], v[68:69]
	v_fma_f64 v[109:110], v[166:167], s[4:5], -v[109:110]
	v_fma_f64 v[118:119], v[166:167], s[10:11], -v[118:119]
	v_fma_f64 v[164:165], v[166:167], s[14:15], v[140:141]
	v_fma_f64 v[140:141], v[166:167], s[14:15], -v[140:141]
	v_add_f64 v[72:73], v[97:98], v[72:73]
	v_fma_f64 v[97:98], v[78:79], s[10:11], -v[154:155]
	v_fma_f64 v[160:161], v[166:167], s[12:13], v[138:139]
	v_fma_f64 v[138:139], v[166:167], s[12:13], -v[138:139]
	v_fma_f64 v[168:169], v[166:167], s[22:23], v[142:143]
	v_fma_f64 v[142:143], v[166:167], s[22:23], -v[142:143]
	v_add_f64 v[50:51], v[50:51], v[54:55]
	v_add_f64 v[48:49], v[48:49], v[52:53]
	;; [unrolled: 1-line block ×4, first 2 shown]
	v_mul_f64 v[99:100], v[20:21], s[26:27]
	v_fma_f64 v[101:102], v[66:67], s[12:13], v[130:131]
	v_add_f64 v[54:55], v[105:106], v[103:104]
	v_add_f64 v[105:106], v[6:7], v[134:135]
	v_mul_f64 v[103:104], v[22:23], s[26:27]
	v_mul_f64 v[134:135], v[82:83], s[26:27]
	v_fma_f64 v[130:131], v[80:81], s[12:13], -v[162:163]
	v_add_f64 v[152:153], v[6:7], v[158:159]
	v_fma_f64 v[154:155], v[86:87], s[12:13], v[170:171]
	v_mul_f64 v[158:159], v[88:89], s[26:27]
	v_mul_f64 v[166:167], v[90:91], s[26:27]
	v_add_f64 v[107:108], v[4:5], v[107:108]
	v_add_f64 v[109:110], v[6:7], v[109:110]
	;; [unrolled: 1-line block ×3, first 2 shown]
	v_fma_f64 v[97:98], v[64:65], s[12:13], -v[136:137]
	v_add_f64 v[136:137], v[4:5], v[146:147]
	v_add_f64 v[146:147], v[4:5], v[148:149]
	v_mul_f64 v[148:149], v[84:85], s[26:27]
	v_add_f64 v[116:117], v[4:5], v[116:117]
	v_add_f64 v[132:133], v[4:5], v[132:133]
	;; [unrolled: 1-line block ×4, first 2 shown]
	v_fma_f64 v[172:173], v[48:49], s[22:23], -v[99:100]
	v_mul_f64 v[176:177], v[92:93], s[36:37]
	v_add_f64 v[101:102], v[101:102], v[54:55]
	v_fma_f64 v[58:59], v[10:11], s[14:15], v[58:59]
	v_fma_f64 v[54:55], v[50:51], s[22:23], v[103:104]
	v_fma_f64 v[174:175], v[76:77], s[22:23], -v[134:135]
	v_add_f64 v[130:131], v[130:131], v[52:53]
	v_fma_f64 v[162:163], v[80:81], s[12:13], v[162:163]
	v_add_f64 v[105:106], v[154:155], v[105:106]
	v_fma_f64 v[154:155], v[78:79], s[22:23], v[158:159]
	v_add_f64 v[156:157], v[4:5], v[156:157]
	v_mul_f64 v[178:179], v[94:95], s[36:37]
	v_fma_f64 v[170:171], v[86:87], s[12:13], -v[170:171]
	v_fma_f64 v[56:57], v[8:9], s[14:15], -v[56:57]
	v_add_f64 v[68:69], v[97:98], v[68:69]
	v_add_f64 v[97:98], v[6:7], v[168:169]
	;; [unrolled: 1-line block ×3, first 2 shown]
	v_fma_f64 v[4:5], v[80:81], s[22:23], -v[148:149]
	v_fma_f64 v[168:169], v[86:87], s[22:23], v[166:167]
	v_mul_f64 v[180:181], v[82:83], s[40:41]
	v_mul_f64 v[182:183], v[88:89], s[40:41]
	v_add_f64 v[118:119], v[6:7], v[118:119]
	v_add_f64 v[160:161], v[6:7], v[160:161]
	;; [unrolled: 1-line block ×7, first 2 shown]
	v_fma_f64 v[6:7], v[80:81], s[22:23], v[148:149]
	v_fma_f64 v[72:73], v[86:87], s[22:23], -v[166:167]
	v_add_f64 v[54:55], v[54:55], v[62:63]
	v_add_f64 v[62:63], v[174:175], v[130:131]
	v_fma_f64 v[130:131], v[66:67], s[14:15], -v[176:177]
	v_add_f64 v[58:59], v[58:59], v[101:102]
	v_add_f64 v[101:102], v[162:163], v[107:108]
	v_fma_f64 v[107:108], v[76:77], s[22:23], v[134:135]
	v_add_f64 v[105:106], v[154:155], v[105:106]
	v_mul_f64 v[134:135], v[84:85], s[36:37]
	v_fma_f64 v[148:149], v[64:65], s[14:15], v[178:179]
	v_add_f64 v[109:110], v[170:171], v[109:110]
	v_fma_f64 v[154:155], v[78:79], s[22:23], -v[158:159]
	v_add_f64 v[56:57], v[56:57], v[68:69]
	v_mul_f64 v[68:69], v[90:91], s[36:37]
	v_fma_f64 v[99:100], v[48:49], s[22:23], v[99:100]
	v_add_f64 v[116:117], v[4:5], v[116:117]
	v_add_f64 v[152:153], v[168:169], v[152:153]
	v_fma_f64 v[158:159], v[76:77], s[12:13], -v[180:181]
	v_fma_f64 v[162:163], v[78:79], s[12:13], v[182:183]
	v_mul_f64 v[166:167], v[92:93], s[30:31]
	v_mul_f64 v[168:169], v[94:95], s[30:31]
	v_add_f64 v[6:7], v[6:7], v[132:133]
	v_add_f64 v[72:73], v[72:73], v[118:119]
	v_fma_f64 v[118:119], v[76:77], s[12:13], v[180:181]
	v_fma_f64 v[132:133], v[78:79], s[12:13], -v[182:183]
	v_add_f64 v[62:63], v[130:131], v[62:63]
	v_mul_f64 v[130:131], v[74:75], s[28:29]
	v_mul_f64 v[174:175], v[82:83], s[30:31]
	v_add_f64 v[101:102], v[107:108], v[101:102]
	v_fma_f64 v[107:108], v[66:67], s[14:15], v[176:177]
	v_fma_f64 v[172:173], v[80:81], s[14:15], -v[134:135]
	v_add_f64 v[105:106], v[148:149], v[105:106]
	v_fma_f64 v[148:149], v[64:65], s[14:15], -v[178:179]
	v_add_f64 v[109:110], v[154:155], v[109:110]
	v_mul_f64 v[176:177], v[88:89], s[30:31]
	v_fma_f64 v[154:155], v[86:87], s[14:15], v[68:69]
	v_fma_f64 v[103:104], v[50:51], s[22:23], -v[103:104]
	v_add_f64 v[4:5], v[99:100], v[58:59]
	v_fma_f64 v[68:69], v[86:87], s[14:15], -v[68:69]
	v_add_f64 v[58:59], v[158:159], v[116:117]
	v_add_f64 v[99:100], v[162:163], v[152:153]
	v_fma_f64 v[116:117], v[66:67], s[6:7], -v[166:167]
	v_mul_f64 v[152:153], v[74:75], s[20:21]
	v_fma_f64 v[158:159], v[64:65], s[6:7], v[168:169]
	v_mul_f64 v[162:163], v[70:71], s[20:21]
	v_add_f64 v[118:119], v[118:119], v[6:7]
	v_add_f64 v[72:73], v[132:133], v[72:73]
	v_fma_f64 v[132:133], v[66:67], s[6:7], v[166:167]
	v_fma_f64 v[166:167], v[64:65], s[6:7], -v[168:169]
	v_fma_f64 v[168:169], v[10:11], s[10:11], -v[130:131]
	v_fma_f64 v[130:131], v[10:11], s[10:11], v[130:131]
	v_add_f64 v[101:102], v[107:108], v[101:102]
	v_add_f64 v[107:108], v[172:173], v[144:145]
	v_fma_f64 v[144:145], v[76:77], s[6:7], -v[174:175]
	v_mul_f64 v[172:173], v[92:93], s[24:25]
	v_add_f64 v[109:110], v[148:149], v[109:110]
	v_mul_f64 v[170:171], v[70:71], s[28:29]
	v_add_f64 v[148:149], v[154:155], v[160:161]
	v_fma_f64 v[154:155], v[78:79], s[6:7], v[176:177]
	v_mul_f64 v[160:161], v[94:95], s[24:25]
	v_add_f64 v[6:7], v[103:104], v[56:57]
	v_fma_f64 v[56:57], v[80:81], s[14:15], v[134:135]
	v_mul_f64 v[103:104], v[84:85], s[28:29]
	v_add_f64 v[58:59], v[116:117], v[58:59]
	v_mul_f64 v[116:117], v[90:91], s[28:29]
	v_fma_f64 v[134:135], v[10:11], s[4:5], -v[152:153]
	v_add_f64 v[99:100], v[158:159], v[99:100]
	v_fma_f64 v[158:159], v[8:9], s[4:5], v[162:163]
	v_mul_f64 v[84:85], v[84:85], s[30:31]
	v_mul_f64 v[90:91], v[90:91], s[30:31]
	v_add_f64 v[118:119], v[132:133], v[118:119]
	v_add_f64 v[72:73], v[166:167], v[72:73]
	v_fma_f64 v[132:133], v[10:11], s[4:5], v[152:153]
	v_fma_f64 v[152:153], v[8:9], s[4:5], -v[162:163]
	v_add_f64 v[101:102], v[130:131], v[101:102]
	v_add_f64 v[107:108], v[144:145], v[107:108]
	v_fma_f64 v[144:145], v[66:67], s[10:11], -v[172:173]
	v_mul_f64 v[166:167], v[88:89], s[20:21]
	v_add_f64 v[62:63], v[168:169], v[62:63]
	v_mul_f64 v[88:89], v[88:89], s[18:19]
	v_add_f64 v[130:131], v[154:155], v[148:149]
	v_fma_f64 v[148:149], v[64:65], s[10:11], v[160:161]
	v_add_f64 v[68:69], v[68:69], v[138:139]
	v_add_f64 v[56:57], v[56:57], v[136:137]
	v_fma_f64 v[136:137], v[76:77], s[6:7], v[174:175]
	v_fma_f64 v[154:155], v[80:81], s[10:11], -v[103:104]
	v_fma_f64 v[162:163], v[86:87], s[10:11], v[116:117]
	v_add_f64 v[58:59], v[134:135], v[58:59]
	v_fma_f64 v[103:104], v[80:81], s[10:11], v[103:104]
	v_mul_f64 v[134:135], v[82:83], s[20:21]
	v_fma_f64 v[116:117], v[86:87], s[10:11], -v[116:117]
	v_fma_f64 v[168:169], v[80:81], s[6:7], -v[84:85]
	v_add_f64 v[99:100], v[158:159], v[99:100]
	v_fma_f64 v[158:159], v[86:87], s[6:7], v[90:91]
	v_fma_f64 v[80:81], v[80:81], s[6:7], v[84:85]
	v_mul_f64 v[82:83], v[82:83], s[18:19]
	v_fma_f64 v[84:85], v[86:87], s[6:7], -v[90:91]
	v_add_f64 v[118:119], v[132:133], v[118:119]
	v_add_f64 v[132:133], v[152:153], v[72:73]
	;; [unrolled: 1-line block ×3, first 2 shown]
	v_fma_f64 v[138:139], v[78:79], s[6:7], -v[176:177]
	v_fma_f64 v[152:153], v[78:79], s[4:5], -v[166:167]
	v_fma_f64 v[178:179], v[8:9], s[10:11], v[170:171]
	v_add_f64 v[90:91], v[148:149], v[130:131]
	v_mul_f64 v[148:149], v[92:93], s[38:39]
	v_mul_f64 v[92:93], v[92:93], s[42:43]
	v_add_f64 v[56:57], v[136:137], v[56:57]
	v_add_f64 v[130:131], v[154:155], v[146:147]
	;; [unrolled: 1-line block ×3, first 2 shown]
	v_fma_f64 v[154:155], v[66:67], s[10:11], v[172:173]
	v_add_f64 v[103:104], v[103:104], v[150:151]
	v_fma_f64 v[144:145], v[76:77], s[4:5], -v[134:135]
	v_add_f64 v[116:117], v[116:117], v[140:141]
	v_fma_f64 v[140:141], v[78:79], s[4:5], v[166:167]
	v_mul_f64 v[150:151], v[94:95], s[38:39]
	v_fma_f64 v[134:135], v[76:77], s[4:5], v[134:135]
	v_add_f64 v[146:147], v[168:169], v[156:157]
	v_add_f64 v[97:98], v[158:159], v[97:98]
	;; [unrolled: 1-line block ×3, first 2 shown]
	v_fma_f64 v[80:81], v[76:77], s[14:15], -v[82:83]
	v_add_f64 v[84:85], v[84:85], v[142:143]
	v_fma_f64 v[76:77], v[76:77], s[14:15], v[82:83]
	v_fma_f64 v[82:83], v[78:79], s[14:15], v[88:89]
	v_fma_f64 v[78:79], v[78:79], s[14:15], -v[88:89]
	v_mul_f64 v[94:95], v[94:95], s[42:43]
	v_add_f64 v[68:69], v[138:139], v[68:69]
	v_fma_f64 v[156:157], v[64:65], s[10:11], -v[160:161]
	v_mul_f64 v[86:87], v[20:21], s[30:31]
	v_mul_f64 v[107:108], v[22:23], s[30:31]
	;; [unrolled: 1-line block ×3, first 2 shown]
	v_fma_f64 v[170:171], v[8:9], s[10:11], -v[170:171]
	v_add_f64 v[56:57], v[154:155], v[56:57]
	v_add_f64 v[105:106], v[178:179], v[105:106]
	;; [unrolled: 1-line block ×3, first 2 shown]
	v_mul_f64 v[144:145], v[74:75], s[38:39]
	v_add_f64 v[136:137], v[140:141], v[136:137]
	v_mul_f64 v[140:141], v[70:71], s[38:39]
	v_add_f64 v[103:104], v[134:135], v[103:104]
	v_fma_f64 v[134:135], v[66:67], s[22:23], -v[148:149]
	v_add_f64 v[116:117], v[152:153], v[116:117]
	v_fma_f64 v[152:153], v[64:65], s[22:23], v[150:151]
	v_add_f64 v[80:81], v[80:81], v[146:147]
	v_mul_f64 v[146:147], v[74:75], s[30:31]
	v_fma_f64 v[148:149], v[66:67], s[22:23], v[148:149]
	v_add_f64 v[82:83], v[82:83], v[97:98]
	v_mul_f64 v[97:98], v[70:71], s[30:31]
	v_fma_f64 v[150:151], v[64:65], s[22:23], -v[150:151]
	v_add_f64 v[60:61], v[76:77], v[60:61]
	v_fma_f64 v[76:77], v[66:67], s[4:5], -v[92:93]
	v_add_f64 v[78:79], v[78:79], v[84:85]
	v_fma_f64 v[84:85], v[64:65], s[4:5], v[94:95]
	v_fma_f64 v[66:67], v[66:67], s[4:5], v[92:93]
	v_mul_f64 v[74:75], v[74:75], s[16:17]
	v_fma_f64 v[64:65], v[64:65], s[4:5], -v[94:95]
	v_mul_f64 v[70:71], v[70:71], s[16:17]
	v_mul_f64 v[94:95], v[22:23], s[18:19]
	v_fma_f64 v[154:155], v[10:11], s[22:23], -v[144:145]
	v_add_f64 v[68:69], v[156:157], v[68:69]
	v_fma_f64 v[156:157], v[8:9], s[22:23], v[140:141]
	v_fma_f64 v[144:145], v[10:11], s[22:23], v[144:145]
	v_add_f64 v[130:131], v[134:135], v[130:131]
	v_mul_f64 v[134:135], v[20:21], s[42:43]
	v_add_f64 v[136:137], v[152:153], v[136:137]
	v_mul_f64 v[152:153], v[22:23], s[42:43]
	v_fma_f64 v[140:141], v[8:9], s[22:23], -v[140:141]
	v_add_f64 v[103:104], v[148:149], v[103:104]
	v_fma_f64 v[148:149], v[10:11], s[6:7], -v[146:147]
	v_fma_f64 v[146:147], v[10:11], s[6:7], v[146:147]
	v_add_f64 v[116:117], v[150:151], v[116:117]
	v_fma_f64 v[150:151], v[8:9], s[6:7], v[97:98]
	v_add_f64 v[76:77], v[76:77], v[80:81]
	v_mul_f64 v[80:81], v[20:21], s[16:17]
	v_add_f64 v[82:83], v[84:85], v[82:83]
	v_mul_f64 v[84:85], v[22:23], s[16:17]
	v_add_f64 v[60:61], v[66:67], v[60:61]
	v_fma_f64 v[66:67], v[10:11], s[12:13], -v[74:75]
	v_add_f64 v[64:65], v[64:65], v[78:79]
	v_fma_f64 v[78:79], v[8:9], s[12:13], v[70:71]
	v_mul_f64 v[20:21], v[20:21], s[28:29]
	v_mul_f64 v[22:23], v[22:23], s[28:29]
	v_fma_f64 v[10:11], v[10:11], s[12:13], v[74:75]
	v_fma_f64 v[70:71], v[8:9], s[12:13], -v[70:71]
	v_fma_f64 v[8:9], v[8:9], s[6:7], -v[97:98]
	;; [unrolled: 1-line block ×3, first 2 shown]
	v_fma_f64 v[88:89], v[50:51], s[6:7], v[107:108]
	v_fma_f64 v[92:93], v[48:49], s[14:15], -v[138:139]
	v_fma_f64 v[74:75], v[50:51], s[14:15], v[94:95]
	v_add_f64 v[72:73], v[154:155], v[72:73]
	v_add_f64 v[90:91], v[156:157], v[90:91]
	v_fma_f64 v[97:98], v[48:49], s[4:5], -v[134:135]
	v_fma_f64 v[154:155], v[50:51], s[4:5], v[152:153]
	v_add_f64 v[130:131], v[148:149], v[130:131]
	v_add_f64 v[136:137], v[150:151], v[136:137]
	v_fma_f64 v[148:149], v[48:49], s[12:13], -v[80:81]
	v_fma_f64 v[86:87], v[48:49], s[6:7], v[86:87]
	v_fma_f64 v[150:151], v[50:51], s[12:13], v[84:85]
	v_add_f64 v[103:104], v[146:147], v[103:104]
	v_add_f64 v[66:67], v[66:67], v[76:77]
	v_fma_f64 v[80:81], v[48:49], s[12:13], v[80:81]
	v_add_f64 v[78:79], v[78:79], v[82:83]
	v_fma_f64 v[76:77], v[48:49], s[10:11], -v[20:21]
	v_fma_f64 v[82:83], v[50:51], s[10:11], v[22:23]
	v_add_f64 v[146:147], v[10:11], v[60:61]
	v_add_f64 v[156:157], v[70:71], v[64:65]
	v_fma_f64 v[158:159], v[48:49], s[10:11], v[20:21]
	v_fma_f64 v[160:161], v[50:51], s[10:11], -v[22:23]
	v_add_f64 v[116:117], v[8:9], v[116:117]
	v_fma_f64 v[84:85], v[50:51], s[12:13], -v[84:85]
	v_add_f64 v[144:145], v[144:145], v[56:57]
	v_fma_f64 v[134:135], v[48:49], s[4:5], v[134:135]
	v_add_f64 v[140:141], v[140:141], v[68:69]
	v_fma_f64 v[152:153], v[50:51], s[4:5], -v[152:153]
	v_fma_f64 v[138:139], v[48:49], s[14:15], v[138:139]
	v_fma_f64 v[94:95], v[50:51], s[14:15], -v[94:95]
	v_add_f64 v[109:110], v[170:171], v[109:110]
	v_fma_f64 v[107:108], v[50:51], s[6:7], -v[107:108]
	v_add_f64 v[20:21], v[142:143], v[62:63]
	v_add_f64 v[22:23], v[88:89], v[105:106]
	;; [unrolled: 1-line block ×14, first 2 shown]
	v_mov_b32_e32 v86, 0x1520
	v_mov_b32_e32 v87, 4
	v_add_f64 v[74:75], v[84:85], v[116:117]
	v_add_f64 v[64:65], v[134:135], v[144:145]
	;; [unrolled: 1-line block ×6, first 2 shown]
	v_mul_u32_u24_sdwa v84, v128, v86 dst_sel:DWORD dst_unused:UNUSED_PAD src0_sel:WORD_0 src1_sel:DWORD
	v_lshlrev_b32_sdwa v85, v87, v208 dst_sel:DWORD dst_unused:UNUSED_PAD src0_sel:DWORD src1_sel:BYTE_0
	ds_write_b128 v96, v[28:31] offset:2080
	ds_write_b128 v96, v[36:39] offset:2496
	;; [unrolled: 1-line block ×4, first 2 shown]
	v_lshl_add_u32 v132, v126, 4, 0
	v_lshl_add_u32 v131, v124, 4, 0
	v_add3_u32 v28, 0, v84, v85
	ds_write_b128 v96, v[44:47] offset:3744
	ds_write_b128 v96, v[24:27] offset:4160
	;; [unrolled: 1-line block ×4, first 2 shown]
	ds_write_b128 v28, v[16:19]
	ds_write_b128 v28, v[52:55] offset:416
	ds_write_b128 v28, v[20:23] offset:832
	;; [unrolled: 1-line block ×12, first 2 shown]
	s_waitcnt lgkmcnt(0)
	s_barrier
	buffer_gl0_inv
	ds_read_b128 v[44:47], v198 offset:5408
	ds_read_b128 v[40:43], v198 offset:6240
	;; [unrolled: 1-line block ×6, first 2 shown]
	ds_read_b128 v[20:23], v205
	ds_read_b128 v[16:19], v132
	ds_read_b128 v[100:103], v198 offset:7072
	ds_read_b128 v[76:79], v198 offset:7904
	;; [unrolled: 1-line block ×6, first 2 shown]
	ds_read_b128 v[32:35], v202
	ds_read_b128 v[28:31], v201
	;; [unrolled: 1-line block ×4, first 2 shown]
	ds_read_b128 v[88:91], v198 offset:8736
	ds_read_b128 v[64:67], v198 offset:9568
	;; [unrolled: 1-line block ×6, first 2 shown]
	v_sub_nc_u32_e32 v0, 0, v115
                                        ; implicit-def: $vgpr2_vgpr3
                                        ; implicit-def: $vgpr14_vgpr15
	v_add_nc_u32_e32 v130, v113, v0
	s_and_saveexec_b32 s1, s0
	s_cbranch_execz .LBB0_15
; %bb.14:
	ds_read_b128 v[8:11], v130
	ds_read_b128 v[4:7], v198 offset:10400
	ds_read_b128 v[0:3], v198 offset:15808
	;; [unrolled: 1-line block ×3, first 2 shown]
	v_mov_b32_e32 v207, v123
.LBB0_15:
	s_or_b32 exec_lo, exec_lo, s1
	v_mul_u32_u24_e32 v113, 3, v112
	v_mul_i32_i24_e32 v128, 3, v114
	v_lshlrev_b32_e32 v113, 4, v113
	v_lshlrev_b64 v[115:116], 4, v[128:129]
	v_mul_i32_i24_e32 v128, 3, v127
	v_add_co_u32 v113, s1, s8, v113
	v_add_co_ci_u32_e64 v118, null, s9, 0, s1
	v_add_co_u32 v119, s1, s8, v115
	v_add_co_ci_u32_e64 v133, s1, s9, v116, s1
	v_add_co_u32 v115, s1, 0x1500, v113
	v_add_co_ci_u32_e64 v116, s1, 0, v118, s1
	;; [unrolled: 2-line block ×5, first 2 shown]
	s_clause 0x1
	global_load_dwordx4 v[133:136], v[115:116], off offset:32
	global_load_dwordx4 v[137:140], v[115:116], off offset:16
	v_lshlrev_b64 v[115:116], 4, v[128:129]
	v_mul_i32_i24_e32 v128, 3, v126
	s_clause 0x3
	global_load_dwordx4 v[141:144], v[141:142], off offset:1280
	global_load_dwordx4 v[145:148], v[153:154], off offset:32
	global_load_dwordx4 v[149:152], v[117:118], off offset:1280
	global_load_dwordx4 v[153:156], v[153:154], off offset:16
	v_add_co_u32 v113, s1, s8, v115
	v_add_co_ci_u32_e64 v119, s1, s9, v116, s1
	v_lshlrev_b64 v[115:116], 4, v[128:129]
	v_add_co_u32 v117, s1, 0x1500, v113
	v_add_co_ci_u32_e64 v118, s1, 0, v119, s1
	v_mul_i32_i24_e32 v128, 3, v125
	v_add_co_u32 v157, s1, s8, v115
	v_add_co_ci_u32_e64 v158, s1, s9, v116, s1
	v_add_co_u32 v115, s1, 0x1000, v113
	v_add_co_ci_u32_e64 v116, s1, 0, v119, s1
	;; [unrolled: 2-line block ×4, first 2 shown]
	s_clause 0x1
	global_load_dwordx4 v[157:160], v[117:118], off offset:32
	global_load_dwordx4 v[161:164], v[117:118], off offset:16
	v_lshlrev_b64 v[117:118], 4, v[128:129]
	v_mul_i32_i24_e32 v128, 3, v124
	s_clause 0x3
	global_load_dwordx4 v[165:168], v[165:166], off offset:1280
	global_load_dwordx4 v[169:172], v[177:178], off offset:32
	;; [unrolled: 1-line block ×4, first 2 shown]
	v_add_co_u32 v113, s1, s8, v117
	v_add_co_ci_u32_e64 v119, s1, s9, v118, s1
	v_lshlrev_b64 v[117:118], 4, v[128:129]
	v_add_co_u32 v115, s1, 0x1000, v113
	v_add_co_ci_u32_e64 v116, s1, 0, v119, s1
	v_add_co_u32 v128, s1, 0x1500, v113
	v_add_co_ci_u32_e64 v129, s1, 0, v119, s1
	;; [unrolled: 2-line block ×3, first 2 shown]
	s_clause 0x1
	global_load_dwordx4 v[181:184], v[115:116], off offset:1280
	global_load_dwordx4 v[185:188], v[128:129], off offset:16
	v_add_co_u32 v115, s1, 0x1000, v113
	v_add_co_ci_u32_e64 v116, s1, 0, v118, s1
	v_add_co_u32 v117, s1, 0x1500, v113
	v_add_co_ci_u32_e64 v118, s1, 0, v118, s1
	s_clause 0x3
	global_load_dwordx4 v[189:192], v[128:129], off offset:32
	global_load_dwordx4 v[193:196], v[115:116], off offset:1280
	;; [unrolled: 1-line block ×4, first 2 shown]
	s_waitcnt vmcnt(0) lgkmcnt(0)
	s_barrier
	buffer_gl0_inv
	v_mul_f64 v[128:129], v[58:59], v[139:140]
	v_mul_f64 v[139:140], v[56:57], v[139:140]
	;; [unrolled: 1-line block ×12, first 2 shown]
	v_fma_f64 v[56:57], v[56:57], v[137:138], -v[128:129]
	v_fma_f64 v[58:59], v[58:59], v[137:138], v[139:140]
	v_fma_f64 v[44:45], v[44:45], v[149:150], -v[115:116]
	v_fma_f64 v[46:47], v[46:47], v[149:150], v[117:118]
	;; [unrolled: 2-line block ×5, first 2 shown]
	v_mul_f64 v[222:223], v[110:111], v[159:160]
	v_mul_f64 v[220:221], v[106:107], v[163:164]
	;; [unrolled: 1-line block ×12, first 2 shown]
	v_fma_f64 v[52:53], v[52:53], v[145:146], -v[216:217]
	v_fma_f64 v[54:55], v[54:55], v[145:146], v[147:148]
	v_add_f64 v[56:57], v[36:37], -v[56:57]
	v_add_f64 v[58:59], v[38:39], -v[58:59]
	;; [unrolled: 1-line block ×4, first 2 shown]
	v_fma_f64 v[108:109], v[108:109], v[157:158], -v[222:223]
	v_fma_f64 v[104:105], v[104:105], v[161:162], -v[220:221]
	v_fma_f64 v[106:107], v[106:107], v[161:162], v[163:164]
	v_mul_f64 v[230:231], v[90:91], v[183:184]
	v_mul_f64 v[183:184], v[88:89], v[183:184]
	;; [unrolled: 1-line block ×4, first 2 shown]
	v_fma_f64 v[100:101], v[100:101], v[173:174], -v[218:219]
	v_fma_f64 v[102:103], v[102:103], v[173:174], v[175:176]
	v_fma_f64 v[110:111], v[110:111], v[157:158], v[159:160]
	v_fma_f64 v[76:77], v[76:77], v[165:166], -v[224:225]
	v_mul_f64 v[234:235], v[98:99], v[191:192]
	v_mul_f64 v[191:192], v[96:97], v[191:192]
	;; [unrolled: 1-line block ×8, first 2 shown]
	v_fma_f64 v[78:79], v[78:79], v[165:166], v[167:168]
	v_fma_f64 v[80:81], v[80:81], v[177:178], -v[226:227]
	v_fma_f64 v[82:83], v[82:83], v[177:178], v[179:180]
	v_fma_f64 v[84:85], v[84:85], v[169:170], -v[228:229]
	v_fma_f64 v[86:87], v[86:87], v[169:170], v[171:172]
	v_add_f64 v[104:105], v[32:33], -v[104:105]
	v_fma_f64 v[88:89], v[88:89], v[181:182], -v[230:231]
	v_fma_f64 v[90:91], v[90:91], v[181:182], v[183:184]
	v_fma_f64 v[92:93], v[92:93], v[185:186], -v[232:233]
	v_fma_f64 v[94:95], v[94:95], v[185:186], v[187:188]
	v_add_f64 v[106:107], v[34:35], -v[106:107]
	v_fma_f64 v[44:45], v[44:45], 2.0, -v[60:61]
	v_fma_f64 v[46:47], v[46:47], 2.0, -v[62:63]
	v_fma_f64 v[96:97], v[96:97], v[189:190], -v[234:235]
	v_fma_f64 v[98:99], v[98:99], v[189:190], v[191:192]
	v_fma_f64 v[64:65], v[64:65], v[193:194], -v[236:237]
	v_fma_f64 v[66:67], v[66:67], v[193:194], v[195:196]
	v_fma_f64 v[68:69], v[68:69], v[208:209], -v[238:239]
	v_fma_f64 v[70:71], v[70:71], v[208:209], v[115:116]
	v_fma_f64 v[72:73], v[72:73], v[212:213], -v[117:118]
	v_fma_f64 v[74:75], v[74:75], v[212:213], v[149:150]
	v_add_f64 v[115:116], v[20:21], -v[48:49]
	v_add_f64 v[117:118], v[22:23], -v[50:51]
	v_add_f64 v[48:49], v[40:41], -v[52:53]
	v_add_f64 v[50:51], v[42:43], -v[54:55]
	v_add_f64 v[52:53], v[100:101], -v[108:109]
	v_add_f64 v[54:55], v[102:103], -v[110:111]
	v_add_f64 v[80:81], v[16:17], -v[80:81]
	v_add_f64 v[82:83], v[18:19], -v[82:83]
	v_add_f64 v[84:85], v[76:77], -v[84:85]
	v_add_f64 v[86:87], v[78:79], -v[86:87]
	v_add_f64 v[92:93], v[28:29], -v[92:93]
	v_add_f64 v[108:109], v[30:31], -v[94:95]
	v_fma_f64 v[135:136], v[32:33], 2.0, -v[104:105]
	v_fma_f64 v[137:138], v[34:35], 2.0, -v[106:107]
	v_add_f64 v[94:95], v[88:89], -v[96:97]
	v_add_f64 v[96:97], v[90:91], -v[98:99]
	v_add_f64 v[98:99], v[24:25], -v[68:69]
	v_add_f64 v[110:111], v[26:27], -v[70:71]
	v_add_f64 v[68:69], v[64:65], -v[72:73]
	v_add_f64 v[70:71], v[66:67], -v[74:75]
	v_fma_f64 v[72:73], v[36:37], 2.0, -v[56:57]
	v_fma_f64 v[74:75], v[38:39], 2.0, -v[58:59]
	v_fma_f64 v[128:129], v[20:21], 2.0, -v[115:116]
	v_fma_f64 v[133:134], v[22:23], 2.0, -v[117:118]
	v_fma_f64 v[40:41], v[40:41], 2.0, -v[48:49]
	v_fma_f64 v[42:43], v[42:43], 2.0, -v[50:51]
	v_add_f64 v[20:21], v[115:116], -v[50:51]
	v_add_f64 v[22:23], v[117:118], v[48:49]
	v_fma_f64 v[48:49], v[100:101], 2.0, -v[52:53]
	v_fma_f64 v[50:51], v[102:103], 2.0, -v[54:55]
	v_add_f64 v[38:39], v[58:59], v[60:61]
	v_add_f64 v[32:33], v[104:105], -v[54:55]
	v_fma_f64 v[100:101], v[16:17], 2.0, -v[80:81]
	v_fma_f64 v[102:103], v[18:19], 2.0, -v[82:83]
	;; [unrolled: 1-line block ×4, first 2 shown]
	v_add_f64 v[36:37], v[56:57], -v[62:63]
	v_fma_f64 v[139:140], v[28:29], 2.0, -v[92:93]
	v_fma_f64 v[141:142], v[30:31], 2.0, -v[108:109]
	;; [unrolled: 1-line block ×8, first 2 shown]
	v_add_f64 v[16:17], v[72:73], -v[44:45]
	v_add_f64 v[18:19], v[74:75], -v[46:47]
	;; [unrolled: 1-line block ×4, first 2 shown]
	v_add_f64 v[34:35], v[106:107], v[52:53]
	v_add_f64 v[44:45], v[135:136], -v[48:49]
	v_add_f64 v[46:47], v[137:138], -v[50:51]
	;; [unrolled: 1-line block ×3, first 2 shown]
	v_add_f64 v[26:27], v[82:83], v[84:85]
	v_add_f64 v[40:41], v[92:93], -v[96:97]
	v_add_f64 v[42:43], v[108:109], v[94:95]
	v_add_f64 v[52:53], v[100:101], -v[54:55]
	v_add_f64 v[54:55], v[102:103], -v[60:61]
	;; [unrolled: 1-line block ×3, first 2 shown]
	v_add_f64 v[50:51], v[110:111], v[68:69]
	v_fma_f64 v[56:57], v[56:57], 2.0, -v[36:37]
	v_add_f64 v[60:61], v[139:140], -v[62:63]
	v_add_f64 v[62:63], v[141:142], -v[76:77]
	v_fma_f64 v[58:59], v[58:59], 2.0, -v[38:39]
	ds_write_b128 v198, v[36:39] offset:16224
	v_add_f64 v[36:37], v[143:144], -v[64:65]
	v_add_f64 v[38:39], v[145:146], -v[66:67]
	v_fma_f64 v[68:69], v[72:73], 2.0, -v[16:17]
	v_fma_f64 v[70:71], v[74:75], 2.0, -v[18:19]
	;; [unrolled: 1-line block ×22, first 2 shown]
	ds_write_b128 v198, v[56:59] offset:5408
	ds_write_b128 v198, v[16:19] offset:10816
	ds_write_b128 v198, v[68:71]
	ds_write_b128 v205, v[64:67] offset:5408
	ds_write_b128 v205, v[28:31] offset:10816
	ds_write_b128 v205, v[20:23] offset:16224
	ds_write_b128 v205, v[76:79]
	ds_write_b128 v202, v[72:75] offset:5408
	;; [unrolled: 4-line block ×5, first 2 shown]
	ds_write_b128 v131, v[36:39] offset:10816
	ds_write_b128 v131, v[104:107]
	ds_write_b128 v131, v[48:51] offset:16224
	s_and_saveexec_b32 s1, s0
	s_cbranch_execz .LBB0_17
; %bb.16:
	v_mul_i32_i24_e32 v16, 3, v207
	v_mov_b32_e32 v17, 0
	v_lshlrev_b64 v[16:17], 4, v[16:17]
	v_add_co_u32 v16, s0, s8, v16
	v_add_co_ci_u32_e64 v17, s0, s9, v17, s0
	v_add_co_u32 v24, s0, 0x1500, v16
	v_add_co_ci_u32_e64 v25, s0, 0, v17, s0
	v_add_co_u32 v20, s0, 0x1000, v16
	v_add_co_ci_u32_e64 v21, s0, 0, v17, s0
	s_clause 0x2
	global_load_dwordx4 v[16:19], v[24:25], off offset:16
	global_load_dwordx4 v[20:23], v[20:21], off offset:1280
	;; [unrolled: 1-line block ×3, first 2 shown]
	s_waitcnt vmcnt(2)
	v_mul_f64 v[28:29], v[0:1], v[18:19]
	s_waitcnt vmcnt(1)
	v_mul_f64 v[30:31], v[6:7], v[22:23]
	v_mul_f64 v[22:23], v[4:5], v[22:23]
	s_waitcnt vmcnt(0)
	v_mul_f64 v[32:33], v[12:13], v[26:27]
	v_mul_f64 v[18:19], v[2:3], v[18:19]
	;; [unrolled: 1-line block ×3, first 2 shown]
	v_fma_f64 v[2:3], v[2:3], v[16:17], v[28:29]
	v_fma_f64 v[4:5], v[4:5], v[20:21], -v[30:31]
	v_fma_f64 v[6:7], v[6:7], v[20:21], v[22:23]
	v_fma_f64 v[14:15], v[14:15], v[24:25], v[32:33]
	v_fma_f64 v[0:1], v[0:1], v[16:17], -v[18:19]
	v_fma_f64 v[12:13], v[12:13], v[24:25], -v[26:27]
	v_add_f64 v[16:17], v[10:11], -v[2:3]
	v_add_f64 v[14:15], v[6:7], -v[14:15]
	;; [unrolled: 1-line block ×4, first 2 shown]
	v_fma_f64 v[12:13], v[10:11], 2.0, -v[16:17]
	v_fma_f64 v[6:7], v[6:7], 2.0, -v[14:15]
	;; [unrolled: 1-line block ×4, first 2 shown]
	v_add_f64 v[2:3], v[16:17], v[0:1]
	v_add_f64 v[0:1], v[18:19], -v[14:15]
	v_add_f64 v[6:7], v[12:13], -v[6:7]
	;; [unrolled: 1-line block ×3, first 2 shown]
	v_fma_f64 v[10:11], v[16:17], 2.0, -v[2:3]
	v_fma_f64 v[8:9], v[18:19], 2.0, -v[0:1]
	v_fma_f64 v[14:15], v[12:13], 2.0, -v[6:7]
	v_fma_f64 v[12:13], v[20:21], 2.0, -v[4:5]
	ds_write_b128 v198, v[8:11] offset:10400
	ds_write_b128 v198, v[4:7] offset:15808
	ds_write_b128 v198, v[12:15] offset:4992
	ds_write_b128 v198, v[0:3] offset:21216
.LBB0_17:
	s_or_b32 exec_lo, exec_lo, s1
	s_waitcnt lgkmcnt(0)
	s_barrier
	buffer_gl0_inv
	ds_read_b128 v[4:7], v198
	v_lshlrev_b32_e32 v0, 4, v112
	s_add_u32 s1, s8, 0x5460
	s_addc_u32 s4, s9, 0
	s_mov_b32 s5, exec_lo
                                        ; implicit-def: $vgpr2_vgpr3
                                        ; implicit-def: $vgpr8_vgpr9
	v_sub_nc_u32_e32 v10, 0, v0
	v_cmpx_ne_u32_e32 0, v112
	s_xor_b32 s5, exec_lo, s5
	s_cbranch_execz .LBB0_19
; %bb.18:
	v_mov_b32_e32 v113, 0
	v_lshlrev_b64 v[0:1], 4, v[112:113]
	v_add_co_u32 v0, s0, s1, v0
	v_add_co_ci_u32_e64 v1, s0, s4, v1, s0
	global_load_dwordx4 v[11:14], v[0:1], off
	ds_read_b128 v[0:3], v10 offset:21632
	s_waitcnt lgkmcnt(0)
	v_add_f64 v[8:9], v[4:5], -v[0:1]
	v_add_f64 v[15:16], v[6:7], v[2:3]
	v_add_f64 v[2:3], v[6:7], -v[2:3]
	v_add_f64 v[0:1], v[4:5], v[0:1]
	v_mul_f64 v[6:7], v[8:9], 0.5
	v_mul_f64 v[4:5], v[15:16], 0.5
	;; [unrolled: 1-line block ×3, first 2 shown]
	s_waitcnt vmcnt(0)
	v_mul_f64 v[8:9], v[6:7], v[13:14]
	v_fma_f64 v[15:16], v[4:5], v[13:14], v[2:3]
	v_fma_f64 v[2:3], v[4:5], v[13:14], -v[2:3]
	v_fma_f64 v[17:18], v[0:1], 0.5, v[8:9]
	v_fma_f64 v[0:1], v[0:1], 0.5, -v[8:9]
	v_fma_f64 v[8:9], -v[11:12], v[6:7], v[15:16]
	v_fma_f64 v[2:3], -v[11:12], v[6:7], v[2:3]
	v_fma_f64 v[13:14], v[4:5], v[11:12], v[17:18]
	v_fma_f64 v[0:1], -v[4:5], v[11:12], v[0:1]
                                        ; implicit-def: $vgpr4_vgpr5
	ds_write_b64 v198, v[13:14]
.LBB0_19:
	s_or_saveexec_b32 s0, s5
	v_lshlrev_b32_e32 v11, 4, v122
	v_sub_nc_u32_e32 v13, 0, v11
	v_lshlrev_b32_e32 v11, 4, v121
	v_sub_nc_u32_e32 v12, 0, v11
	;; [unrolled: 2-line block ×3, first 2 shown]
	s_xor_b32 exec_lo, exec_lo, s0
	s_cbranch_execz .LBB0_21
; %bb.20:
	v_mov_b32_e32 v18, 0
	s_waitcnt lgkmcnt(0)
	v_add_f64 v[16:17], v[4:5], v[6:7]
	v_add_f64 v[0:1], v[4:5], -v[6:7]
	v_mov_b32_e32 v8, 0
	v_mov_b32_e32 v9, 0
	ds_read_b64 v[14:15], v18 offset:10824
	v_mov_b32_e32 v2, v8
	v_mov_b32_e32 v3, v9
	s_waitcnt lgkmcnt(0)
	v_xor_b32_e32 v15, 0x80000000, v15
	ds_write_b64 v198, v[16:17]
	ds_write_b64 v18, v[14:15] offset:10824
.LBB0_21:
	s_or_b32 exec_lo, exec_lo, s0
	v_mov_b32_e32 v115, 0
	ds_write_b64 v198, v[8:9] offset:8
	ds_write_b128 v10, v[0:3] offset:21632
	s_waitcnt lgkmcnt(2)
	v_lshlrev_b64 v[4:5], 4, v[114:115]
	v_mov_b32_e32 v128, v115
	v_add_nc_u32_e32 v114, 0x16c, v112
	v_lshlrev_b64 v[14:15], 4, v[127:128]
	v_add_co_u32 v4, s0, s1, v4
	v_add_co_ci_u32_e64 v5, s0, s4, v5, s0
	v_mov_b32_e32 v127, v115
	v_add_co_u32 v14, s0, s1, v14
	global_load_dwordx4 v[4:7], v[4:5], off
	v_add_co_ci_u32_e64 v15, s0, s4, v15, s0
	v_lshlrev_b64 v[8:9], 4, v[126:127]
	v_mov_b32_e32 v126, v115
	global_load_dwordx4 v[14:17], v[14:15], off
	ds_read_b128 v[0:3], v205
	ds_read_b128 v[18:21], v10 offset:20800
	v_add_co_u32 v8, s0, s1, v8
	v_add_co_ci_u32_e64 v9, s0, s4, v9, s0
	global_load_dwordx4 v[22:25], v[8:9], off
	s_waitcnt lgkmcnt(0)
	v_add_f64 v[8:9], v[0:1], -v[18:19]
	v_add_f64 v[26:27], v[2:3], v[20:21]
	v_add_f64 v[2:3], v[2:3], -v[20:21]
	v_add_f64 v[0:1], v[0:1], v[18:19]
	v_mul_f64 v[8:9], v[8:9], 0.5
	v_mul_f64 v[20:21], v[26:27], 0.5
	;; [unrolled: 1-line block ×3, first 2 shown]
	s_waitcnt vmcnt(2)
	v_mul_f64 v[18:19], v[8:9], v[6:7]
	v_fma_f64 v[26:27], v[20:21], v[6:7], v[2:3]
	v_fma_f64 v[6:7], v[20:21], v[6:7], -v[2:3]
	v_fma_f64 v[28:29], v[0:1], 0.5, v[18:19]
	v_fma_f64 v[18:19], v[0:1], 0.5, -v[18:19]
	v_fma_f64 v[2:3], -v[4:5], v[8:9], v[26:27]
	v_fma_f64 v[6:7], -v[4:5], v[8:9], v[6:7]
	v_lshlrev_b64 v[8:9], 4, v[125:126]
	v_mov_b32_e32 v125, v115
	v_add_co_u32 v8, s0, s1, v8
	v_add_co_ci_u32_e64 v9, s0, s4, v9, s0
	v_fma_f64 v[0:1], v[20:21], v[4:5], v[28:29]
	v_fma_f64 v[4:5], -v[20:21], v[4:5], v[18:19]
	ds_write_b128 v205, v[0:3]
	ds_write_b128 v10, v[4:7] offset:20800
	ds_read_b128 v[0:3], v202
	ds_read_b128 v[4:7], v10 offset:19968
	global_load_dwordx4 v[18:21], v[8:9], off
	s_waitcnt lgkmcnt(0)
	v_add_f64 v[8:9], v[0:1], -v[4:5]
	v_add_f64 v[26:27], v[2:3], v[6:7]
	v_add_f64 v[2:3], v[2:3], -v[6:7]
	v_add_f64 v[0:1], v[0:1], v[4:5]
	v_mul_f64 v[6:7], v[8:9], 0.5
	v_mul_f64 v[8:9], v[26:27], 0.5
	;; [unrolled: 1-line block ×3, first 2 shown]
	s_waitcnt vmcnt(2)
	v_mul_f64 v[4:5], v[6:7], v[16:17]
	v_fma_f64 v[26:27], v[8:9], v[16:17], v[2:3]
	v_fma_f64 v[16:17], v[8:9], v[16:17], -v[2:3]
	v_fma_f64 v[28:29], v[0:1], 0.5, v[4:5]
	v_fma_f64 v[4:5], v[0:1], 0.5, -v[4:5]
	v_fma_f64 v[2:3], -v[14:15], v[6:7], v[26:27]
	v_fma_f64 v[6:7], -v[14:15], v[6:7], v[16:17]
	v_fma_f64 v[0:1], v[8:9], v[14:15], v[28:29]
	v_fma_f64 v[4:5], -v[8:9], v[14:15], v[4:5]
	v_lshlrev_b64 v[8:9], 4, v[124:125]
	v_mov_b32_e32 v124, v115
	ds_write_b128 v202, v[0:3]
	ds_write_b128 v10, v[4:7] offset:19968
	v_add_co_u32 v8, s0, s1, v8
	ds_read_b128 v[0:3], v132
	ds_read_b128 v[4:7], v10 offset:19136
	v_add_co_ci_u32_e64 v9, s0, s4, v9, s0
	global_load_dwordx4 v[14:17], v[8:9], off
	s_waitcnt lgkmcnt(0)
	v_add_f64 v[8:9], v[0:1], -v[4:5]
	v_add_f64 v[26:27], v[2:3], v[6:7]
	v_add_f64 v[2:3], v[2:3], -v[6:7]
	v_add_f64 v[0:1], v[0:1], v[4:5]
	v_mul_f64 v[6:7], v[8:9], 0.5
	v_mul_f64 v[8:9], v[26:27], 0.5
	;; [unrolled: 1-line block ×3, first 2 shown]
	s_waitcnt vmcnt(2)
	v_mul_f64 v[4:5], v[6:7], v[24:25]
	v_fma_f64 v[26:27], v[8:9], v[24:25], v[2:3]
	v_fma_f64 v[24:25], v[8:9], v[24:25], -v[2:3]
	v_fma_f64 v[28:29], v[0:1], 0.5, v[4:5]
	v_fma_f64 v[4:5], v[0:1], 0.5, -v[4:5]
	v_fma_f64 v[2:3], -v[22:23], v[6:7], v[26:27]
	v_fma_f64 v[6:7], -v[22:23], v[6:7], v[24:25]
	v_fma_f64 v[0:1], v[8:9], v[22:23], v[28:29]
	v_fma_f64 v[4:5], -v[8:9], v[22:23], v[4:5]
	v_lshlrev_b64 v[8:9], 4, v[123:124]
	v_mov_b32_e32 v123, v115
	ds_write_b128 v132, v[0:3]
	ds_write_b128 v10, v[4:7] offset:19136
	v_add_co_u32 v8, s0, s1, v8
	ds_read_b128 v[0:3], v201
	ds_read_b128 v[4:7], v10 offset:18304
	v_add_co_ci_u32_e64 v9, s0, s4, v9, s0
	global_load_dwordx4 v[22:25], v[8:9], off
	s_waitcnt lgkmcnt(0)
	v_add_f64 v[8:9], v[0:1], -v[4:5]
	v_add_f64 v[26:27], v[2:3], v[6:7]
	v_add_f64 v[2:3], v[2:3], -v[6:7]
	v_add_f64 v[0:1], v[0:1], v[4:5]
	v_mul_f64 v[6:7], v[8:9], 0.5
	v_mul_f64 v[8:9], v[26:27], 0.5
	v_mul_f64 v[2:3], v[2:3], 0.5
	s_waitcnt vmcnt(2)
	v_mul_f64 v[4:5], v[6:7], v[20:21]
	v_fma_f64 v[26:27], v[8:9], v[20:21], v[2:3]
	v_fma_f64 v[20:21], v[8:9], v[20:21], -v[2:3]
	v_fma_f64 v[28:29], v[0:1], 0.5, v[4:5]
	v_fma_f64 v[4:5], v[0:1], 0.5, -v[4:5]
	v_fma_f64 v[2:3], -v[18:19], v[6:7], v[26:27]
	v_fma_f64 v[6:7], -v[18:19], v[6:7], v[20:21]
	v_fma_f64 v[0:1], v[8:9], v[18:19], v[28:29]
	v_fma_f64 v[4:5], -v[8:9], v[18:19], v[4:5]
	v_lshlrev_b64 v[8:9], 4, v[114:115]
	v_add_nc_u32_e32 v114, 0x1d4, v112
	ds_write_b128 v201, v[0:3]
	ds_write_b128 v10, v[4:7] offset:18304
	v_add_co_u32 v8, s0, s1, v8
	ds_read_b128 v[0:3], v131
	ds_read_b128 v[4:7], v10 offset:17472
	v_add_co_ci_u32_e64 v9, s0, s4, v9, s0
	global_load_dwordx4 v[18:21], v[8:9], off
	s_waitcnt lgkmcnt(0)
	v_add_f64 v[8:9], v[0:1], -v[4:5]
	v_add_f64 v[26:27], v[2:3], v[6:7]
	v_add_f64 v[2:3], v[2:3], -v[6:7]
	v_add_f64 v[0:1], v[0:1], v[4:5]
	v_mul_f64 v[6:7], v[8:9], 0.5
	v_mul_f64 v[8:9], v[26:27], 0.5
	;; [unrolled: 1-line block ×3, first 2 shown]
	s_waitcnt vmcnt(2)
	v_mul_f64 v[4:5], v[6:7], v[16:17]
	v_fma_f64 v[26:27], v[8:9], v[16:17], v[2:3]
	v_fma_f64 v[16:17], v[8:9], v[16:17], -v[2:3]
	v_fma_f64 v[28:29], v[0:1], 0.5, v[4:5]
	v_fma_f64 v[4:5], v[0:1], 0.5, -v[4:5]
	v_fma_f64 v[2:3], -v[14:15], v[6:7], v[26:27]
	v_fma_f64 v[6:7], -v[14:15], v[6:7], v[16:17]
	v_fma_f64 v[0:1], v[8:9], v[14:15], v[28:29]
	v_fma_f64 v[4:5], -v[8:9], v[14:15], v[4:5]
	v_lshlrev_b64 v[8:9], 4, v[122:123]
	v_mov_b32_e32 v122, v115
	ds_write_b128 v131, v[0:3]
	ds_write_b128 v10, v[4:7] offset:17472
	ds_read_b128 v[0:3], v130
	ds_read_b128 v[4:7], v10 offset:16640
	v_add_co_u32 v8, s0, s1, v8
	v_add_co_ci_u32_e64 v9, s0, s4, v9, s0
	global_load_dwordx4 v[14:17], v[8:9], off
	s_waitcnt lgkmcnt(0)
	v_add_f64 v[8:9], v[0:1], -v[4:5]
	v_add_f64 v[26:27], v[2:3], v[6:7]
	v_add_f64 v[2:3], v[2:3], -v[6:7]
	v_add_f64 v[0:1], v[0:1], v[4:5]
	v_mul_f64 v[6:7], v[8:9], 0.5
	v_mul_f64 v[8:9], v[26:27], 0.5
	;; [unrolled: 1-line block ×3, first 2 shown]
	s_waitcnt vmcnt(2)
	v_mul_f64 v[4:5], v[6:7], v[24:25]
	v_fma_f64 v[26:27], v[8:9], v[24:25], v[2:3]
	v_fma_f64 v[24:25], v[8:9], v[24:25], -v[2:3]
	v_fma_f64 v[28:29], v[0:1], 0.5, v[4:5]
	v_fma_f64 v[4:5], v[0:1], 0.5, -v[4:5]
	v_fma_f64 v[2:3], -v[22:23], v[6:7], v[26:27]
	v_fma_f64 v[6:7], -v[22:23], v[6:7], v[24:25]
	v_fma_f64 v[0:1], v[8:9], v[22:23], v[28:29]
	v_fma_f64 v[4:5], -v[8:9], v[22:23], v[4:5]
	v_lshlrev_b64 v[8:9], 4, v[114:115]
	v_add_nc_u32_e32 v114, 0x23c, v112
	ds_write_b128 v130, v[0:3]
	ds_write_b128 v10, v[4:7] offset:16640
	ds_read_b128 v[0:3], v198 offset:5824
	ds_read_b128 v[4:7], v10 offset:15808
	v_add_co_u32 v8, s0, s1, v8
	v_add_co_ci_u32_e64 v9, s0, s4, v9, s0
	global_load_dwordx4 v[22:25], v[8:9], off
	s_waitcnt lgkmcnt(0)
	v_add_f64 v[8:9], v[0:1], -v[4:5]
	v_add_f64 v[26:27], v[2:3], v[6:7]
	v_add_f64 v[2:3], v[2:3], -v[6:7]
	v_add_f64 v[0:1], v[0:1], v[4:5]
	v_mul_f64 v[6:7], v[8:9], 0.5
	v_mul_f64 v[8:9], v[26:27], 0.5
	;; [unrolled: 1-line block ×3, first 2 shown]
	s_waitcnt vmcnt(2)
	v_mul_f64 v[4:5], v[6:7], v[20:21]
	v_fma_f64 v[26:27], v[8:9], v[20:21], v[2:3]
	v_fma_f64 v[20:21], v[8:9], v[20:21], -v[2:3]
	v_fma_f64 v[28:29], v[0:1], 0.5, v[4:5]
	v_fma_f64 v[4:5], v[0:1], 0.5, -v[4:5]
	v_fma_f64 v[2:3], -v[18:19], v[6:7], v[26:27]
	v_fma_f64 v[6:7], -v[18:19], v[6:7], v[20:21]
	v_fma_f64 v[0:1], v[8:9], v[18:19], v[28:29]
	v_fma_f64 v[4:5], -v[8:9], v[18:19], v[4:5]
	buffer_load_dword v8, off, s[44:47], 0 offset:20 ; 4-byte Folded Reload
	ds_write_b128 v198, v[0:3] offset:5824
	ds_write_b128 v10, v[4:7] offset:15808
	s_waitcnt vmcnt(0)
	v_add_nc_u32_e32 v13, v8, v13
	ds_read_b128 v[0:3], v13
	ds_read_b128 v[4:7], v10 offset:14976
	v_lshlrev_b64 v[8:9], 4, v[121:122]
	v_mov_b32_e32 v121, v115
	v_add_co_u32 v8, s0, s1, v8
	v_add_co_ci_u32_e64 v9, s0, s4, v9, s0
	global_load_dwordx4 v[18:21], v[8:9], off
	s_waitcnt lgkmcnt(0)
	v_add_f64 v[8:9], v[0:1], -v[4:5]
	v_add_f64 v[26:27], v[2:3], v[6:7]
	v_add_f64 v[2:3], v[2:3], -v[6:7]
	v_add_f64 v[0:1], v[0:1], v[4:5]
	v_mul_f64 v[6:7], v[8:9], 0.5
	v_mul_f64 v[8:9], v[26:27], 0.5
	;; [unrolled: 1-line block ×3, first 2 shown]
	v_mul_f64 v[4:5], v[6:7], v[16:17]
	v_fma_f64 v[26:27], v[8:9], v[16:17], v[2:3]
	v_fma_f64 v[16:17], v[8:9], v[16:17], -v[2:3]
	v_fma_f64 v[28:29], v[0:1], 0.5, v[4:5]
	v_fma_f64 v[4:5], v[0:1], 0.5, -v[4:5]
	v_fma_f64 v[2:3], -v[14:15], v[6:7], v[26:27]
	v_fma_f64 v[6:7], -v[14:15], v[6:7], v[16:17]
	v_fma_f64 v[0:1], v[8:9], v[14:15], v[28:29]
	v_fma_f64 v[4:5], -v[8:9], v[14:15], v[4:5]
	v_lshlrev_b64 v[8:9], 4, v[114:115]
	ds_write_b128 v13, v[0:3]
	ds_write_b128 v10, v[4:7] offset:14976
	ds_read_b128 v[0:3], v198 offset:7488
	ds_read_b128 v[4:7], v10 offset:14144
	v_add_co_u32 v8, s0, s1, v8
	v_add_co_ci_u32_e64 v9, s0, s4, v9, s0
	global_load_dwordx4 v[13:16], v[8:9], off
	s_waitcnt lgkmcnt(0)
	v_add_f64 v[8:9], v[0:1], -v[4:5]
	v_add_f64 v[26:27], v[2:3], v[6:7]
	v_add_f64 v[2:3], v[2:3], -v[6:7]
	v_add_f64 v[0:1], v[0:1], v[4:5]
	v_mul_f64 v[6:7], v[8:9], 0.5
	v_mul_f64 v[8:9], v[26:27], 0.5
	;; [unrolled: 1-line block ×3, first 2 shown]
	v_mul_f64 v[4:5], v[6:7], v[24:25]
	v_fma_f64 v[26:27], v[8:9], v[24:25], v[2:3]
	v_fma_f64 v[24:25], v[8:9], v[24:25], -v[2:3]
	v_fma_f64 v[28:29], v[0:1], 0.5, v[4:5]
	v_fma_f64 v[4:5], v[0:1], 0.5, -v[4:5]
	v_fma_f64 v[2:3], -v[22:23], v[6:7], v[26:27]
	v_fma_f64 v[6:7], -v[22:23], v[6:7], v[24:25]
	v_fma_f64 v[0:1], v[8:9], v[22:23], v[28:29]
	v_fma_f64 v[4:5], -v[8:9], v[22:23], v[4:5]
	buffer_load_dword v8, off, s[44:47], 0 offset:16 ; 4-byte Folded Reload
	ds_write_b128 v198, v[0:3] offset:7488
	ds_write_b128 v10, v[4:7] offset:14144
	s_waitcnt vmcnt(0)
	v_add_nc_u32_e32 v12, v8, v12
	v_lshlrev_b64 v[8:9], 4, v[120:121]
	ds_read_b128 v[0:3], v12
	ds_read_b128 v[4:7], v10 offset:13312
	v_add_co_u32 v8, s0, s1, v8
	v_add_co_ci_u32_e64 v9, s0, s4, v9, s0
	global_load_dwordx4 v[22:25], v[8:9], off
	s_waitcnt lgkmcnt(0)
	v_add_f64 v[8:9], v[0:1], -v[4:5]
	v_add_f64 v[26:27], v[2:3], v[6:7]
	v_add_f64 v[2:3], v[2:3], -v[6:7]
	v_add_f64 v[0:1], v[0:1], v[4:5]
	v_mul_f64 v[6:7], v[8:9], 0.5
	v_mul_f64 v[8:9], v[26:27], 0.5
	;; [unrolled: 1-line block ×3, first 2 shown]
	v_mul_f64 v[4:5], v[6:7], v[20:21]
	v_fma_f64 v[26:27], v[8:9], v[20:21], v[2:3]
	v_fma_f64 v[20:21], v[8:9], v[20:21], -v[2:3]
	v_fma_f64 v[28:29], v[0:1], 0.5, v[4:5]
	v_fma_f64 v[4:5], v[0:1], 0.5, -v[4:5]
	v_fma_f64 v[2:3], -v[18:19], v[6:7], v[26:27]
	v_fma_f64 v[6:7], -v[18:19], v[6:7], v[20:21]
	v_fma_f64 v[0:1], v[8:9], v[18:19], v[28:29]
	v_fma_f64 v[4:5], -v[8:9], v[18:19], v[4:5]
	ds_write_b128 v12, v[0:3]
	ds_write_b128 v10, v[4:7] offset:13312
	ds_read_b128 v[0:3], v198 offset:9152
	ds_read_b128 v[4:7], v10 offset:12480
	s_waitcnt lgkmcnt(0)
	v_add_f64 v[8:9], v[0:1], -v[4:5]
	v_add_f64 v[17:18], v[2:3], v[6:7]
	v_add_f64 v[2:3], v[2:3], -v[6:7]
	v_add_f64 v[0:1], v[0:1], v[4:5]
	v_mul_f64 v[6:7], v[8:9], 0.5
	v_mul_f64 v[8:9], v[17:18], 0.5
	;; [unrolled: 1-line block ×3, first 2 shown]
	v_mul_f64 v[4:5], v[6:7], v[15:16]
	v_fma_f64 v[17:18], v[8:9], v[15:16], v[2:3]
	v_fma_f64 v[15:16], v[8:9], v[15:16], -v[2:3]
	v_fma_f64 v[19:20], v[0:1], 0.5, v[4:5]
	v_fma_f64 v[4:5], v[0:1], 0.5, -v[4:5]
	v_fma_f64 v[2:3], -v[13:14], v[6:7], v[17:18]
	v_fma_f64 v[6:7], -v[13:14], v[6:7], v[15:16]
	v_add_nc_u32_e32 v17, v206, v11
	v_fma_f64 v[0:1], v[8:9], v[13:14], v[19:20]
	v_fma_f64 v[4:5], -v[8:9], v[13:14], v[4:5]
	ds_write_b128 v198, v[0:3] offset:9152
	ds_write_b128 v10, v[4:7] offset:12480
	ds_read_b128 v[0:3], v17
	ds_read_b128 v[4:7], v10 offset:11648
	s_waitcnt lgkmcnt(0)
	v_add_f64 v[8:9], v[0:1], -v[4:5]
	v_add_f64 v[11:12], v[2:3], v[6:7]
	v_add_f64 v[2:3], v[2:3], -v[6:7]
	v_add_f64 v[0:1], v[0:1], v[4:5]
	v_mul_f64 v[6:7], v[8:9], 0.5
	v_mul_f64 v[8:9], v[11:12], 0.5
	;; [unrolled: 1-line block ×3, first 2 shown]
	s_waitcnt vmcnt(0)
	v_mul_f64 v[4:5], v[6:7], v[24:25]
	v_fma_f64 v[11:12], v[8:9], v[24:25], v[2:3]
	v_fma_f64 v[13:14], v[8:9], v[24:25], -v[2:3]
	v_fma_f64 v[15:16], v[0:1], 0.5, v[4:5]
	v_fma_f64 v[4:5], v[0:1], 0.5, -v[4:5]
	v_fma_f64 v[2:3], -v[22:23], v[6:7], v[11:12]
	v_fma_f64 v[6:7], -v[22:23], v[6:7], v[13:14]
	v_fma_f64 v[0:1], v[8:9], v[22:23], v[15:16]
	v_fma_f64 v[4:5], -v[8:9], v[22:23], v[4:5]
	ds_write_b128 v17, v[0:3]
	ds_write_b128 v10, v[4:7] offset:11648
	s_waitcnt lgkmcnt(0)
	s_barrier
	buffer_gl0_inv
	s_and_saveexec_b32 s0, vcc_lo
	s_cbranch_execz .LBB0_24
; %bb.22:
	ds_read_b128 v[2:5], v198
	ds_read_b128 v[6:9], v198 offset:832
	ds_read_b128 v[10:13], v198 offset:1664
	;; [unrolled: 1-line block ×3, first 2 shown]
	s_clause 0x1
	buffer_load_dword v0, off, s[44:47], 0 offset:8
	buffer_load_dword v1, off, s[44:47], 0 offset:12
	v_mov_b32_e32 v113, v115
	v_lshlrev_b64 v[18:19], 4, v[112:113]
	s_waitcnt vmcnt(1)
	v_add_co_u32 v0, vcc_lo, s2, v0
	s_waitcnt vmcnt(0)
	v_add_co_ci_u32_e32 v1, vcc_lo, s3, v1, vcc_lo
	v_add_co_u32 v42, vcc_lo, v0, v18
	v_add_co_ci_u32_e32 v43, vcc_lo, v1, v19, vcc_lo
	ds_read_b128 v[18:21], v198 offset:3328
	ds_read_b128 v[22:25], v198 offset:4160
	v_add_co_u32 v34, vcc_lo, 0x800, v42
	v_add_co_ci_u32_e32 v35, vcc_lo, 0, v43, vcc_lo
	s_waitcnt lgkmcnt(5)
	global_store_dwordx4 v[42:43], v[2:5], off
	s_waitcnt lgkmcnt(4)
	global_store_dwordx4 v[42:43], v[6:9], off offset:832
	s_waitcnt lgkmcnt(3)
	global_store_dwordx4 v[42:43], v[10:13], off offset:1664
	;; [unrolled: 2-line block ×3, first 2 shown]
	ds_read_b128 v[2:5], v198 offset:4992
	ds_read_b128 v[6:9], v198 offset:5824
	;; [unrolled: 1-line block ×6, first 2 shown]
	v_add_co_u32 v44, vcc_lo, 0x1000, v42
	v_add_co_ci_u32_e32 v45, vcc_lo, 0, v43, vcc_lo
	v_add_co_u32 v46, vcc_lo, 0x1800, v42
	v_add_co_ci_u32_e32 v47, vcc_lo, 0, v43, vcc_lo
	v_add_co_u32 v48, vcc_lo, 0x2000, v42
	s_waitcnt lgkmcnt(7)
	global_store_dwordx4 v[34:35], v[18:21], off offset:1280
	s_waitcnt lgkmcnt(6)
	global_store_dwordx4 v[44:45], v[22:25], off offset:64
	v_add_co_ci_u32_e32 v49, vcc_lo, 0, v43, vcc_lo
	ds_read_b128 v[18:21], v198 offset:9984
	ds_read_b128 v[22:25], v198 offset:10816
	;; [unrolled: 1-line block ×4, first 2 shown]
	s_waitcnt lgkmcnt(9)
	global_store_dwordx4 v[44:45], v[2:5], off offset:896
	s_waitcnt lgkmcnt(8)
	global_store_dwordx4 v[44:45], v[6:9], off offset:1728
	;; [unrolled: 2-line block ×6, first 2 shown]
	s_clause 0x1
	buffer_load_dword v4, off, s[44:47], 0
	buffer_load_dword v5, off, s[44:47], 0 offset:4
	v_add_co_u32 v2, vcc_lo, 0x2800, v42
	v_add_co_ci_u32_e32 v3, vcc_lo, 0, v43, vcc_lo
	v_add_co_u32 v44, vcc_lo, 0x3000, v42
	v_add_co_ci_u32_e32 v45, vcc_lo, 0, v43, vcc_lo
	s_waitcnt lgkmcnt(3)
	global_store_dwordx4 v[48:49], v[18:21], off offset:1792
	s_waitcnt lgkmcnt(2)
	global_store_dwordx4 v[2:3], v[22:25], off offset:576
	s_waitcnt lgkmcnt(1)
	global_store_dwordx4 v[2:3], v[34:37], off offset:1408
	s_waitcnt lgkmcnt(0)
	global_store_dwordx4 v[44:45], v[38:41], off offset:192
	s_waitcnt vmcnt(1)
	v_mov_b32_e32 v114, v4
	s_waitcnt vmcnt(0)
	ds_read_b128 v[2:5], v198 offset:13312
	ds_read_b128 v[6:9], v198 offset:14144
	;; [unrolled: 1-line block ×6, first 2 shown]
	v_lshlrev_b64 v[26:27], 4, v[114:115]
	v_add_co_u32 v46, vcc_lo, v0, v26
	v_add_co_ci_u32_e32 v47, vcc_lo, v1, v27, vcc_lo
	ds_read_b128 v[26:29], v198 offset:18304
	ds_read_b128 v[30:33], v198 offset:19136
	;; [unrolled: 1-line block ×4, first 2 shown]
	v_add_co_u32 v48, vcc_lo, 0x3800, v42
	v_add_co_ci_u32_e32 v49, vcc_lo, 0, v43, vcc_lo
	v_add_co_u32 v50, vcc_lo, 0x4000, v42
	v_add_co_ci_u32_e32 v51, vcc_lo, 0, v43, vcc_lo
	s_waitcnt lgkmcnt(9)
	global_store_dwordx4 v[46:47], v[2:5], off
	s_waitcnt lgkmcnt(8)
	global_store_dwordx4 v[44:45], v[6:9], off offset:1856
	s_waitcnt lgkmcnt(7)
	global_store_dwordx4 v[48:49], v[10:13], off offset:640
	;; [unrolled: 2-line block ×5, first 2 shown]
	v_add_co_u32 v2, vcc_lo, 0x4800, v42
	v_add_co_ci_u32_e32 v3, vcc_lo, 0, v43, vcc_lo
	v_add_co_u32 v4, vcc_lo, 0x5000, v42
	v_add_co_ci_u32_e32 v5, vcc_lo, 0, v43, vcc_lo
	v_cmp_eq_u32_e32 vcc_lo, 51, v112
	s_waitcnt lgkmcnt(3)
	global_store_dwordx4 v[50:51], v[26:29], off offset:1920
	s_waitcnt lgkmcnt(2)
	global_store_dwordx4 v[2:3], v[30:33], off offset:704
	;; [unrolled: 2-line block ×4, first 2 shown]
	s_and_b32 exec_lo, exec_lo, vcc_lo
	s_cbranch_execz .LBB0_24
; %bb.23:
	v_mov_b32_e32 v2, 0
	v_add_co_u32 v0, vcc_lo, 0x5000, v0
	v_add_co_ci_u32_e32 v1, vcc_lo, 0, v1, vcc_lo
	ds_read_b128 v[2:5], v2 offset:21632
	s_waitcnt lgkmcnt(0)
	global_store_dwordx4 v[0:1], v[2:5], off offset:1152
.LBB0_24:
	s_endpgm
	.section	.rodata,"a",@progbits
	.p2align	6, 0x0
	.amdhsa_kernel fft_rtc_fwd_len1352_factors_2_13_13_4_wgs_52_tpt_52_halfLds_dp_ip_CI_unitstride_sbrr_R2C_dirReg
		.amdhsa_group_segment_fixed_size 0
		.amdhsa_private_segment_fixed_size 28
		.amdhsa_kernarg_size 88
		.amdhsa_user_sgpr_count 6
		.amdhsa_user_sgpr_private_segment_buffer 1
		.amdhsa_user_sgpr_dispatch_ptr 0
		.amdhsa_user_sgpr_queue_ptr 0
		.amdhsa_user_sgpr_kernarg_segment_ptr 1
		.amdhsa_user_sgpr_dispatch_id 0
		.amdhsa_user_sgpr_flat_scratch_init 0
		.amdhsa_user_sgpr_private_segment_size 0
		.amdhsa_wavefront_size32 1
		.amdhsa_uses_dynamic_stack 0
		.amdhsa_system_sgpr_private_segment_wavefront_offset 1
		.amdhsa_system_sgpr_workgroup_id_x 1
		.amdhsa_system_sgpr_workgroup_id_y 0
		.amdhsa_system_sgpr_workgroup_id_z 0
		.amdhsa_system_sgpr_workgroup_info 0
		.amdhsa_system_vgpr_workitem_id 0
		.amdhsa_next_free_vgpr 256
		.amdhsa_next_free_sgpr 48
		.amdhsa_reserve_vcc 1
		.amdhsa_reserve_flat_scratch 0
		.amdhsa_float_round_mode_32 0
		.amdhsa_float_round_mode_16_64 0
		.amdhsa_float_denorm_mode_32 3
		.amdhsa_float_denorm_mode_16_64 3
		.amdhsa_dx10_clamp 1
		.amdhsa_ieee_mode 1
		.amdhsa_fp16_overflow 0
		.amdhsa_workgroup_processor_mode 1
		.amdhsa_memory_ordered 1
		.amdhsa_forward_progress 0
		.amdhsa_shared_vgpr_count 0
		.amdhsa_exception_fp_ieee_invalid_op 0
		.amdhsa_exception_fp_denorm_src 0
		.amdhsa_exception_fp_ieee_div_zero 0
		.amdhsa_exception_fp_ieee_overflow 0
		.amdhsa_exception_fp_ieee_underflow 0
		.amdhsa_exception_fp_ieee_inexact 0
		.amdhsa_exception_int_div_zero 0
	.end_amdhsa_kernel
	.text
.Lfunc_end0:
	.size	fft_rtc_fwd_len1352_factors_2_13_13_4_wgs_52_tpt_52_halfLds_dp_ip_CI_unitstride_sbrr_R2C_dirReg, .Lfunc_end0-fft_rtc_fwd_len1352_factors_2_13_13_4_wgs_52_tpt_52_halfLds_dp_ip_CI_unitstride_sbrr_R2C_dirReg
                                        ; -- End function
	.section	.AMDGPU.csdata,"",@progbits
; Kernel info:
; codeLenInByte = 26140
; NumSgprs: 50
; NumVgprs: 256
; ScratchSize: 28
; MemoryBound: 0
; FloatMode: 240
; IeeeMode: 1
; LDSByteSize: 0 bytes/workgroup (compile time only)
; SGPRBlocks: 6
; VGPRBlocks: 31
; NumSGPRsForWavesPerEU: 50
; NumVGPRsForWavesPerEU: 256
; Occupancy: 4
; WaveLimiterHint : 1
; COMPUTE_PGM_RSRC2:SCRATCH_EN: 1
; COMPUTE_PGM_RSRC2:USER_SGPR: 6
; COMPUTE_PGM_RSRC2:TRAP_HANDLER: 0
; COMPUTE_PGM_RSRC2:TGID_X_EN: 1
; COMPUTE_PGM_RSRC2:TGID_Y_EN: 0
; COMPUTE_PGM_RSRC2:TGID_Z_EN: 0
; COMPUTE_PGM_RSRC2:TIDIG_COMP_CNT: 0
	.text
	.p2alignl 6, 3214868480
	.fill 48, 4, 3214868480
	.type	__hip_cuid_241e8841defa29fe,@object ; @__hip_cuid_241e8841defa29fe
	.section	.bss,"aw",@nobits
	.globl	__hip_cuid_241e8841defa29fe
__hip_cuid_241e8841defa29fe:
	.byte	0                               ; 0x0
	.size	__hip_cuid_241e8841defa29fe, 1

	.ident	"AMD clang version 19.0.0git (https://github.com/RadeonOpenCompute/llvm-project roc-6.4.0 25133 c7fe45cf4b819c5991fe208aaa96edf142730f1d)"
	.section	".note.GNU-stack","",@progbits
	.addrsig
	.addrsig_sym __hip_cuid_241e8841defa29fe
	.amdgpu_metadata
---
amdhsa.kernels:
  - .args:
      - .actual_access:  read_only
        .address_space:  global
        .offset:         0
        .size:           8
        .value_kind:     global_buffer
      - .offset:         8
        .size:           8
        .value_kind:     by_value
      - .actual_access:  read_only
        .address_space:  global
        .offset:         16
        .size:           8
        .value_kind:     global_buffer
      - .actual_access:  read_only
        .address_space:  global
        .offset:         24
        .size:           8
        .value_kind:     global_buffer
      - .offset:         32
        .size:           8
        .value_kind:     by_value
      - .actual_access:  read_only
        .address_space:  global
        .offset:         40
        .size:           8
        .value_kind:     global_buffer
      - .actual_access:  read_only
        .address_space:  global
        .offset:         48
        .size:           8
        .value_kind:     global_buffer
      - .offset:         56
        .size:           4
        .value_kind:     by_value
      - .actual_access:  read_only
        .address_space:  global
        .offset:         64
        .size:           8
        .value_kind:     global_buffer
      - .actual_access:  read_only
        .address_space:  global
        .offset:         72
        .size:           8
        .value_kind:     global_buffer
      - .address_space:  global
        .offset:         80
        .size:           8
        .value_kind:     global_buffer
    .group_segment_fixed_size: 0
    .kernarg_segment_align: 8
    .kernarg_segment_size: 88
    .language:       OpenCL C
    .language_version:
      - 2
      - 0
    .max_flat_workgroup_size: 52
    .name:           fft_rtc_fwd_len1352_factors_2_13_13_4_wgs_52_tpt_52_halfLds_dp_ip_CI_unitstride_sbrr_R2C_dirReg
    .private_segment_fixed_size: 28
    .sgpr_count:     50
    .sgpr_spill_count: 0
    .symbol:         fft_rtc_fwd_len1352_factors_2_13_13_4_wgs_52_tpt_52_halfLds_dp_ip_CI_unitstride_sbrr_R2C_dirReg.kd
    .uniform_work_group_size: 1
    .uses_dynamic_stack: false
    .vgpr_count:     256
    .vgpr_spill_count: 8
    .wavefront_size: 32
    .workgroup_processor_mode: 1
amdhsa.target:   amdgcn-amd-amdhsa--gfx1030
amdhsa.version:
  - 1
  - 2
...

	.end_amdgpu_metadata
